;; amdgpu-corpus repo=ROCm/rocFFT kind=compiled arch=gfx1030 opt=O3
	.text
	.amdgcn_target "amdgcn-amd-amdhsa--gfx1030"
	.amdhsa_code_object_version 6
	.protected	bluestein_single_fwd_len1040_dim1_dp_op_CI_CI ; -- Begin function bluestein_single_fwd_len1040_dim1_dp_op_CI_CI
	.globl	bluestein_single_fwd_len1040_dim1_dp_op_CI_CI
	.p2align	8
	.type	bluestein_single_fwd_len1040_dim1_dp_op_CI_CI,@function
bluestein_single_fwd_len1040_dim1_dp_op_CI_CI: ; @bluestein_single_fwd_len1040_dim1_dp_op_CI_CI
; %bb.0:
	s_load_dwordx4 s[0:3], s[4:5], 0x28
	v_mul_u32_u24_e32 v1, 0x13c, v0
	v_mov_b32_e32 v149, 0
	v_lshrrev_b32_e32 v1, 16, v1
	v_add_nc_u32_e32 v148, s6, v1
	s_waitcnt lgkmcnt(0)
	v_cmp_gt_u64_e32 vcc_lo, s[0:1], v[148:149]
	s_and_saveexec_b32 s0, vcc_lo
	s_cbranch_execz .LBB0_23
; %bb.1:
	v_mul_lo_u16 v1, 0xd0, v1
	s_clause 0x1
	s_load_dwordx2 s[14:15], s[4:5], 0x0
	s_load_dwordx2 s[12:13], s[4:5], 0x38
	v_sub_nc_u16 v0, v0, v1
	v_and_b32_e32 v167, 0xffff, v0
	v_cmp_gt_u16_e32 vcc_lo, 0x50, v0
	v_lshlrev_b32_e32 v165, 4, v167
	v_or_b32_e32 v166, 0x280, v167
	s_and_saveexec_b32 s1, vcc_lo
	s_cbranch_execz .LBB0_3
; %bb.2:
	s_load_dwordx2 s[6:7], s[4:5], 0x18
	s_waitcnt lgkmcnt(0)
	v_add_co_u32 v19, s0, s14, v165
	v_add_co_ci_u32_e64 v20, null, s15, 0, s0
	v_lshlrev_b32_e32 v8, 4, v166
	v_add_co_u32 v24, s0, 0x800, v19
	v_add_co_ci_u32_e64 v25, s0, 0, v20, s0
	v_add_co_u32 v28, s0, 0x2800, v19
	v_add_co_ci_u32_e64 v29, s0, 0, v20, s0
	;; [unrolled: 2-line block ×3, first 2 shown]
	v_add_co_u32 v40, s0, 0x1800, v19
	s_load_dwordx4 s[8:11], s[6:7], 0x0
	v_add_co_ci_u32_e64 v41, s0, 0, v20, s0
	s_clause 0x2
	global_load_dwordx4 v[0:3], v165, s[14:15]
	global_load_dwordx4 v[4:7], v165, s[14:15] offset:1280
	global_load_dwordx4 v[8:11], v8, s[14:15]
	s_waitcnt lgkmcnt(0)
	v_mad_u64_u32 v[12:13], null, s10, v148, 0
	v_mad_u64_u32 v[14:15], null, s8, v167, 0
	s_mul_i32 s6, s9, 0x500
	s_mul_hi_u32 s7, s8, 0x500
	s_add_i32 s7, s7, s6
	v_mad_u64_u32 v[16:17], null, s11, v148, v[13:14]
	v_mad_u64_u32 v[17:18], null, s9, v167, v[15:16]
	v_mov_b32_e32 v13, v16
	v_lshlrev_b64 v[12:13], 4, v[12:13]
	v_mov_b32_e32 v15, v17
	v_mad_u64_u32 v[16:17], null, s8, v166, 0
	v_lshlrev_b64 v[14:15], 4, v[14:15]
	v_add_co_u32 v18, s0, s2, v12
	v_add_co_ci_u32_e64 v21, s0, s3, v13, s0
	s_mul_i32 s2, s8, 0x500
	v_add_co_u32 v12, s0, v18, v14
	v_add_co_ci_u32_e64 v13, s0, v21, v15, s0
	v_mov_b32_e32 v14, v17
	v_add_co_u32 v48, s0, v12, s2
	v_add_co_ci_u32_e64 v49, s0, s7, v13, s0
	v_add_co_u32 v44, s0, 0x2000, v19
	v_add_co_ci_u32_e64 v45, s0, 0, v20, s0
	;; [unrolled: 2-line block ×3, first 2 shown]
	v_mad_u64_u32 v[14:15], null, s9, v166, v[14:15]
	v_add_co_u32 v56, s0, v52, s2
	v_add_co_ci_u32_e64 v57, s0, s7, v53, s0
	v_add_co_u32 v60, s0, v56, s2
	v_add_co_ci_u32_e64 v61, s0, s7, v57, s0
	;; [unrolled: 2-line block ×4, first 2 shown]
	v_mov_b32_e32 v17, v14
	v_add_co_u32 v68, s0, v64, s2
	v_add_co_ci_u32_e64 v69, s0, s7, v65, s0
	v_lshlrev_b64 v[14:15], 4, v[16:17]
	v_add_co_u32 v72, s0, v68, s2
	v_add_co_ci_u32_e64 v73, s0, s7, v69, s0
	v_add_co_u32 v16, s0, v18, v14
	v_mad_u64_u32 v[76:77], null, 0xa00, s8, v[72:73]
	v_add_co_ci_u32_e64 v17, s0, v21, v15, s0
	v_add_co_u32 v96, s0, 0x3800, v19
	v_add_co_ci_u32_e64 v97, s0, 0, v20, s0
	v_mov_b32_e32 v46, v77
	s_clause 0x1
	global_load_dwordx4 v[12:15], v[12:13], off
	global_load_dwordx4 v[16:19], v[16:17], off
	s_clause 0x2
	global_load_dwordx4 v[20:23], v[24:25], off offset:512
	global_load_dwordx4 v[24:27], v[24:25], off offset:1792
	;; [unrolled: 1-line block ×3, first 2 shown]
	v_add_co_u32 v80, s0, v76, s2
	s_clause 0x2
	global_load_dwordx4 v[32:35], v[32:33], off offset:1024
	global_load_dwordx4 v[36:39], v[40:41], off offset:256
	;; [unrolled: 1-line block ×3, first 2 shown]
	v_mad_u64_u32 v[74:75], null, 0xa00, s9, v[46:47]
	global_load_dwordx4 v[44:47], v[44:45], off offset:768
	s_clause 0x3
	global_load_dwordx4 v[48:51], v[48:49], off
	global_load_dwordx4 v[52:55], v[52:53], off
	;; [unrolled: 1-line block ×6, first 2 shown]
	v_mov_b32_e32 v77, v74
	global_load_dwordx4 v[72:75], v[72:73], off
	v_add_co_ci_u32_e64 v81, s0, s7, v77, s0
	v_add_co_u32 v92, s0, v80, s2
	global_load_dwordx4 v[76:79], v[76:77], off
	v_add_co_ci_u32_e64 v93, s0, s7, v81, s0
	v_add_co_u32 v100, s0, v92, s2
	global_load_dwordx4 v[80:83], v[80:81], off
	v_add_co_ci_u32_e64 v101, s0, s7, v93, s0
	s_clause 0x1
	global_load_dwordx4 v[84:87], v[88:89], off offset:512
	global_load_dwordx4 v[88:91], v[88:89], off offset:1792
	global_load_dwordx4 v[92:95], v[92:93], off
	global_load_dwordx4 v[96:99], v[96:97], off offset:1024
	global_load_dwordx4 v[100:103], v[100:101], off
	s_waitcnt vmcnt(22)
	v_mul_f64 v[104:105], v[14:15], v[2:3]
	v_mul_f64 v[2:3], v[12:13], v[2:3]
	s_waitcnt vmcnt(21)
	v_mul_f64 v[106:107], v[18:19], v[10:11]
	v_mul_f64 v[108:109], v[16:17], v[10:11]
	;; [unrolled: 3-line block ×6, first 2 shown]
	v_fma_f64 v[10:11], v[12:13], v[0:1], v[104:105]
	s_waitcnt vmcnt(9)
	v_mul_f64 v[104:105], v[66:67], v[38:39]
	v_mul_f64 v[38:39], v[64:65], v[38:39]
	v_fma_f64 v[12:13], v[14:15], v[0:1], -v[2:3]
	v_fma_f64 v[0:1], v[16:17], v[8:9], v[106:107]
	s_waitcnt vmcnt(8)
	v_mul_f64 v[106:107], v[70:71], v[42:43]
	v_mul_f64 v[42:43], v[68:69], v[42:43]
	v_fma_f64 v[2:3], v[18:19], v[8:9], -v[108:109]
	s_waitcnt vmcnt(7)
	v_mul_f64 v[108:109], v[74:75], v[46:47]
	v_mul_f64 v[46:47], v[72:73], v[46:47]
	s_waitcnt vmcnt(6)
	v_mul_f64 v[120:121], v[78:79], v[30:31]
	v_mul_f64 v[122:123], v[76:77], v[30:31]
	;; [unrolled: 3-line block ×5, first 2 shown]
	v_fma_f64 v[6:7], v[48:49], v[4:5], v[110:111]
	v_fma_f64 v[8:9], v[50:51], v[4:5], -v[112:113]
	v_fma_f64 v[14:15], v[52:53], v[20:21], v[114:115]
	v_fma_f64 v[16:17], v[54:55], v[20:21], -v[22:23]
	;; [unrolled: 2-line block ×11, first 2 shown]
	ds_write_b128 v165, v[10:13]
	ds_write_b128 v165, v[6:9] offset:1280
	ds_write_b128 v165, v[14:17] offset:2560
	;; [unrolled: 1-line block ×12, first 2 shown]
.LBB0_3:
	s_or_b32 exec_lo, exec_lo, s1
	s_waitcnt lgkmcnt(0)
	s_barrier
	buffer_gl0_inv
                                        ; implicit-def: $vgpr0_vgpr1
                                        ; implicit-def: $vgpr24_vgpr25
                                        ; implicit-def: $vgpr16_vgpr17
                                        ; implicit-def: $vgpr4_vgpr5
                                        ; implicit-def: $vgpr8_vgpr9
                                        ; implicit-def: $vgpr12_vgpr13
                                        ; implicit-def: $vgpr20_vgpr21
                                        ; implicit-def: $vgpr28_vgpr29
                                        ; implicit-def: $vgpr32_vgpr33
                                        ; implicit-def: $vgpr36_vgpr37
                                        ; implicit-def: $vgpr44_vgpr45
                                        ; implicit-def: $vgpr48_vgpr49
                                        ; implicit-def: $vgpr40_vgpr41
	s_and_saveexec_b32 s0, vcc_lo
	s_cbranch_execz .LBB0_5
; %bb.4:
	ds_read_b128 v[0:3], v165
	ds_read_b128 v[40:43], v165 offset:1280
	ds_read_b128 v[48:51], v165 offset:2560
	;; [unrolled: 1-line block ×12, first 2 shown]
.LBB0_5:
	s_or_b32 exec_lo, exec_lo, s0
	s_waitcnt lgkmcnt(11)
	v_add_f64 v[60:61], v[0:1], v[40:41]
	v_add_f64 v[62:63], v[2:3], v[42:43]
	s_waitcnt lgkmcnt(2)
	v_add_f64 v[82:83], v[12:13], v[44:45]
	v_add_f64 v[84:85], v[14:15], v[46:47]
	v_add_f64 v[92:93], v[44:45], -v[12:13]
	v_add_f64 v[94:95], v[46:47], -v[14:15]
	v_add_f64 v[74:75], v[16:17], v[36:37]
	v_add_f64 v[76:77], v[18:19], v[38:39]
	v_add_f64 v[80:81], v[36:37], -v[16:17]
	v_add_f64 v[86:87], v[38:39], -v[18:19]
	s_waitcnt lgkmcnt(0)
	v_add_f64 v[64:65], v[42:43], -v[6:7]
	s_mov_b32 s17, 0xbfddbe06
	s_mov_b32 s16, 0x4267c47c
	v_add_f64 v[58:59], v[20:21], v[32:33]
	v_add_f64 v[68:69], v[22:23], v[34:35]
	v_add_f64 v[72:73], v[32:33], -v[20:21]
	v_add_f64 v[78:79], v[34:35], -v[22:23]
	v_add_f64 v[90:91], v[10:11], v[50:51]
	v_add_f64 v[66:67], v[4:5], v[40:41]
	v_add_f64 v[40:41], v[40:41], -v[4:5]
	s_mov_b32 s24, 0x42a4c3d2
	s_mov_b32 s10, 0xe00740e9
	v_add_f64 v[60:61], v[48:49], v[60:61]
	v_add_f64 v[62:63], v[50:51], v[62:63]
	v_add_f64 v[50:51], v[50:51], -v[10:11]
	s_mov_b32 s25, 0xbfea55e2
	s_mov_b32 s11, 0x3fec55a7
	v_add_f64 v[54:55], v[24:25], v[28:29]
	v_add_f64 v[52:53], v[26:27], v[30:31]
	v_add_f64 v[56:57], v[24:25], -v[28:29]
	v_add_f64 v[70:71], v[26:27], -v[30:31]
	v_add_f64 v[88:89], v[8:9], v[48:49]
	v_add_f64 v[48:49], v[48:49], -v[8:9]
	v_add_f64 v[42:43], v[6:7], v[42:43]
	s_mov_b32 s30, 0x66966769
	s_mov_b32 s8, 0x2ef20147
	;; [unrolled: 1-line block ×10, first 2 shown]
	v_add_f64 v[44:45], v[44:45], v[60:61]
	v_add_f64 v[46:47], v[46:47], v[62:63]
	v_mul_f64 v[60:61], v[64:65], s[16:17]
	v_mul_f64 v[108:109], v[50:51], s[24:25]
	;; [unrolled: 1-line block ×11, first 2 shown]
	s_mov_b32 s0, 0xebaa3ed8
	s_mov_b32 s2, 0xb2365da1
	;; [unrolled: 1-line block ×8, first 2 shown]
	v_mul_f64 v[114:115], v[92:93], s[30:31]
	v_add_f64 v[36:37], v[36:37], v[44:45]
	v_add_f64 v[38:39], v[38:39], v[46:47]
	v_mul_f64 v[46:47], v[40:41], s[16:17]
	v_fma_f64 v[168:169], v[66:67], s[10:11], -v[60:61]
	v_mul_f64 v[44:45], v[64:65], s[28:29]
	v_mul_f64 v[64:65], v[40:41], s[24:25]
	;; [unrolled: 1-line block ×3, first 2 shown]
	v_fma_f64 v[180:181], v[88:89], s[6:7], -v[108:109]
	v_mul_f64 v[116:117], v[86:87], s[8:9]
	v_mul_f64 v[120:121], v[78:79], s[22:23]
	;; [unrolled: 1-line block ×5, first 2 shown]
	v_fma_f64 v[172:173], v[66:67], s[2:3], -v[98:99]
	v_fma_f64 v[98:99], v[66:67], s[2:3], v[98:99]
	v_fma_f64 v[174:175], v[66:67], s[20:21], -v[100:101]
	v_fma_f64 v[100:101], v[66:67], s[20:21], v[100:101]
	v_fma_f64 v[178:179], v[42:43], s[0:1], v[102:103]
	v_fma_f64 v[102:103], v[42:43], s[0:1], -v[102:103]
	v_fma_f64 v[182:183], v[90:91], s[6:7], v[110:111]
	v_fma_f64 v[108:109], v[88:89], s[6:7], v[108:109]
	v_mul_f64 v[118:119], v[80:81], s[8:9]
	v_add_f64 v[32:33], v[32:33], v[36:37]
	v_add_f64 v[34:35], v[34:35], v[38:39]
	v_fma_f64 v[170:171], v[42:43], s[10:11], v[46:47]
	v_add_f64 v[168:169], v[0:1], v[168:169]
	v_fma_f64 v[176:177], v[66:67], s[18:19], -v[44:45]
	v_fma_f64 v[44:45], v[66:67], s[18:19], v[44:45]
	v_fma_f64 v[46:47], v[42:43], s[10:11], -v[46:47]
	v_fma_f64 v[184:185], v[42:43], s[18:19], v[40:41]
	v_fma_f64 v[40:41], v[42:43], s[18:19], -v[40:41]
	v_mul_f64 v[122:123], v[72:73], s[22:23]
	v_mul_f64 v[132:133], v[94:95], s[28:29]
	;; [unrolled: 1-line block ×5, first 2 shown]
	v_fma_f64 v[186:187], v[84:85], s[0:1], v[114:115]
	v_fma_f64 v[188:189], v[74:75], s[2:3], -v[116:117]
	v_fma_f64 v[192:193], v[58:59], s[20:21], -v[120:121]
	v_fma_f64 v[196:197], v[54:55], s[18:19], -v[124:125]
	v_fma_f64 v[110:111], v[90:91], s[6:7], -v[110:111]
	s_mov_b32 s35, 0x3fe5384d
	s_mov_b32 s37, 0x3fedeba7
	;; [unrolled: 1-line block ×3, first 2 shown]
	v_add_f64 v[24:25], v[24:25], v[32:33]
	v_add_f64 v[26:27], v[26:27], v[34:35]
	v_fma_f64 v[32:33], v[66:67], s[10:11], v[60:61]
	v_fma_f64 v[34:35], v[66:67], s[6:7], -v[62:63]
	v_fma_f64 v[60:61], v[66:67], s[6:7], v[62:63]
	v_fma_f64 v[62:63], v[66:67], s[0:1], -v[96:97]
	v_fma_f64 v[96:97], v[66:67], s[0:1], v[96:97]
	v_fma_f64 v[66:67], v[42:43], s[6:7], v[64:65]
	v_fma_f64 v[64:65], v[42:43], s[6:7], -v[64:65]
	v_add_f64 v[170:171], v[2:3], v[170:171]
	v_add_f64 v[168:169], v[180:181], v[168:169]
	;; [unrolled: 1-line block ×3, first 2 shown]
	s_mov_b32 s36, s8
	v_mul_f64 v[38:39], v[86:87], s[34:35]
	v_mul_f64 v[134:135], v[80:81], s[34:35]
	;; [unrolled: 1-line block ×4, first 2 shown]
	v_fma_f64 v[190:191], v[76:77], s[2:3], v[118:119]
	v_fma_f64 v[194:195], v[68:69], s[20:21], v[122:123]
	v_fma_f64 v[180:181], v[82:83], s[18:19], -v[132:133]
	s_mov_b32 s17, 0x3fddbe06
	v_mul_f64 v[126:127], v[56:57], s[28:29]
	v_add_f64 v[24:25], v[28:29], v[24:25]
	v_add_f64 v[26:27], v[30:31], v[26:27]
	v_fma_f64 v[28:29], v[42:43], s[2:3], v[104:105]
	v_fma_f64 v[30:31], v[42:43], s[2:3], -v[104:105]
	v_fma_f64 v[104:105], v[42:43], s[20:21], v[106:107]
	v_fma_f64 v[106:107], v[42:43], s[20:21], -v[106:107]
	v_fma_f64 v[42:43], v[82:83], s[0:1], -v[112:113]
	v_add_f64 v[32:33], v[0:1], v[32:33]
	v_add_f64 v[66:67], v[2:3], v[66:67]
	;; [unrolled: 1-line block ×3, first 2 shown]
	v_fma_f64 v[182:183], v[84:85], s[18:19], v[36:37]
	v_add_f64 v[46:47], v[110:111], v[46:47]
	v_add_f64 v[64:65], v[2:3], v[64:65]
	v_mul_f64 v[149:150], v[50:51], s[34:35]
	v_mul_f64 v[151:152], v[48:49], s[34:35]
	;; [unrolled: 1-line block ×4, first 2 shown]
	v_fma_f64 v[200:201], v[74:75], s[20:21], -v[38:39]
	v_fma_f64 v[202:203], v[76:77], s[20:21], v[134:135]
	v_add_f64 v[34:35], v[0:1], v[34:35]
	v_fma_f64 v[36:37], v[84:85], s[18:19], -v[36:37]
	v_fma_f64 v[38:39], v[74:75], s[20:21], v[38:39]
	v_add_f64 v[20:21], v[20:21], v[24:25]
	v_add_f64 v[22:23], v[22:23], v[26:27]
	v_fma_f64 v[24:25], v[82:83], s[0:1], v[112:113]
	v_fma_f64 v[112:113], v[74:75], s[2:3], v[116:117]
	;; [unrolled: 1-line block ×5, first 2 shown]
	v_add_f64 v[32:33], v[108:109], v[32:33]
	v_add_f64 v[42:43], v[42:43], v[168:169]
	v_fma_f64 v[26:27], v[84:85], s[0:1], -v[114:115]
	v_fma_f64 v[114:115], v[76:77], s[2:3], -v[118:119]
	;; [unrolled: 1-line block ×4, first 2 shown]
	v_add_f64 v[108:109], v[186:187], v[170:171]
	v_fma_f64 v[168:169], v[82:83], s[2:3], -v[144:145]
	v_fma_f64 v[170:171], v[84:85], s[2:3], v[146:147]
	s_mov_b32 s27, 0x3fefc445
	s_mov_b32 s26, s30
	v_mul_f64 v[161:162], v[94:95], s[16:17]
	v_mul_f64 v[136:137], v[78:79], s[26:27]
	;; [unrolled: 1-line block ×4, first 2 shown]
	v_add_f64 v[16:17], v[16:17], v[20:21]
	v_add_f64 v[18:19], v[18:19], v[22:23]
	v_fma_f64 v[20:21], v[88:89], s[2:3], v[128:129]
	v_add_f64 v[22:23], v[0:1], v[60:61]
	v_fma_f64 v[60:61], v[90:91], s[2:3], -v[130:131]
	v_fma_f64 v[128:129], v[82:83], s[18:19], v[132:133]
	v_fma_f64 v[130:131], v[88:89], s[18:19], -v[140:141]
	v_fma_f64 v[132:133], v[90:91], s[18:19], v[142:143]
	v_add_f64 v[66:67], v[124:125], v[66:67]
	v_add_f64 v[24:25], v[24:25], v[32:33]
	;; [unrolled: 1-line block ×3, first 2 shown]
	v_fma_f64 v[140:141], v[88:89], s[18:19], v[140:141]
	v_fma_f64 v[142:143], v[90:91], s[18:19], -v[142:143]
	v_add_f64 v[26:27], v[26:27], v[46:47]
	v_add_f64 v[42:43], v[190:191], v[108:109]
	v_fma_f64 v[198:199], v[52:53], s[18:19], v[126:127]
	v_add_f64 v[34:35], v[122:123], v[34:35]
	v_fma_f64 v[46:47], v[84:85], s[2:3], -v[146:147]
	v_fma_f64 v[108:109], v[88:89], s[20:21], -v[149:150]
	v_fma_f64 v[122:123], v[90:91], s[20:21], v[151:152]
	v_add_f64 v[28:29], v[2:3], v[28:29]
	v_add_f64 v[30:31], v[2:3], v[30:31]
	v_add_f64 v[12:13], v[12:13], v[16:17]
	v_add_f64 v[14:15], v[14:15], v[18:19]
	v_fma_f64 v[16:17], v[82:83], s[2:3], v[144:145]
	v_add_f64 v[18:19], v[20:21], v[22:23]
	v_add_f64 v[20:21], v[0:1], v[62:63]
	;; [unrolled: 1-line block ×13, first 2 shown]
	v_fma_f64 v[110:111], v[68:69], s[0:1], v[138:139]
	v_add_f64 v[98:99], v[0:1], v[98:99]
	v_add_f64 v[100:101], v[0:1], v[100:101]
	s_mov_b32 s29, 0x3fcea1e5
	v_add_f64 v[28:29], v[122:123], v[28:29]
	v_add_f64 v[34:35], v[180:181], v[34:35]
	v_add_f64 v[8:9], v[8:9], v[12:13]
	v_add_f64 v[10:11], v[10:11], v[14:15]
	v_add_f64 v[12:13], v[0:1], v[174:175]
	v_add_f64 v[14:15], v[128:129], v[18:19]
	v_add_f64 v[18:19], v[130:131], v[20:21]
	v_add_f64 v[20:21], v[132:133], v[22:23]
	v_add_f64 v[22:23], v[2:3], v[104:105]
	v_add_f64 v[104:105], v[2:3], v[106:107]
	v_add_f64 v[112:113], v[140:141], v[62:63]
	v_add_f64 v[96:97], v[142:143], v[96:97]
	v_add_f64 v[2:3], v[2:3], v[40:41]
	v_add_f64 v[36:37], v[36:37], v[60:61]
	v_add_f64 v[40:41], v[202:203], v[64:65]
	v_add_f64 v[64:65], v[196:197], v[32:33]
	v_mul_f64 v[32:33], v[72:73], s[24:25]
	v_add_f64 v[106:107], v[0:1], v[176:177]
	v_add_f64 v[0:1], v[0:1], v[44:45]
	;; [unrolled: 1-line block ×4, first 2 shown]
	v_fma_f64 v[42:43], v[74:75], s[10:11], v[157:158]
	v_fma_f64 v[44:45], v[76:77], s[10:11], -v[159:160]
	v_mul_f64 v[116:117], v[80:81], s[30:31]
	v_add_f64 v[60:61], v[4:5], v[8:9]
	v_add_f64 v[62:63], v[6:7], v[10:11]
	v_add_f64 v[26:27], v[118:119], v[26:27]
	v_add_f64 v[6:7], v[38:39], v[14:15]
	v_add_f64 v[8:9], v[168:169], v[18:19]
	v_add_f64 v[10:11], v[170:171], v[20:21]
	v_fma_f64 v[14:15], v[74:75], s[10:11], -v[157:158]
	v_fma_f64 v[18:19], v[76:77], s[10:11], v[159:160]
	v_mul_f64 v[20:21], v[78:79], s[24:25]
	v_add_f64 v[16:17], v[16:17], v[112:113]
	v_add_f64 v[38:39], v[46:47], v[96:97]
	v_fma_f64 v[46:47], v[58:59], s[0:1], v[136:137]
	v_add_f64 v[96:97], v[108:109], v[102:103]
	v_fma_f64 v[102:103], v[82:83], s[10:11], -v[161:162]
	v_fma_f64 v[108:109], v[84:85], s[10:11], v[163:164]
	v_mul_f64 v[112:113], v[86:87], s[30:31]
	v_fma_f64 v[118:119], v[52:53], s[18:19], -v[126:127]
	v_add_f64 v[40:41], v[110:111], v[40:41]
	v_mul_f64 v[110:111], v[70:71], s[22:23]
	v_mul_f64 v[126:127], v[56:57], s[22:23]
	v_fma_f64 v[4:5], v[76:77], s[20:21], -v[134:135]
	v_mul_f64 v[132:133], v[94:95], s[24:25]
	v_mul_f64 v[134:135], v[92:93], s[24:25]
	v_mul_f64 v[94:95], v[94:95], s[22:23]
	v_mul_f64 v[92:93], v[92:93], s[22:23]
	s_mov_b32 s25, 0x3fea55e2
	v_mul_f64 v[153:154], v[70:71], s[16:17]
	v_mul_f64 v[155:156], v[56:57], s[16:17]
	v_add_f64 v[8:9], v[14:15], v[8:9]
	v_add_f64 v[10:11], v[18:19], v[10:11]
	v_fma_f64 v[14:15], v[58:59], s[6:7], -v[20:21]
	v_fma_f64 v[18:19], v[68:69], s[6:7], v[32:33]
	v_add_f64 v[16:17], v[42:43], v[16:17]
	v_add_f64 v[38:39], v[44:45], v[38:39]
	v_fma_f64 v[20:21], v[58:59], s[6:7], v[20:21]
	v_fma_f64 v[32:33], v[68:69], s[6:7], -v[32:33]
	v_add_f64 v[6:7], v[46:47], v[6:7]
	v_add_f64 v[42:43], v[102:103], v[96:97]
	;; [unrolled: 1-line block ×3, first 2 shown]
	v_fma_f64 v[44:45], v[74:75], s[0:1], -v[112:113]
	v_fma_f64 v[46:47], v[76:77], s[0:1], v[116:117]
	v_mul_f64 v[96:97], v[50:51], s[26:27]
	v_mul_f64 v[102:103], v[48:49], s[26:27]
	v_add_f64 v[4:5], v[4:5], v[36:37]
	v_fma_f64 v[36:37], v[68:69], s[0:1], -v[138:139]
	v_mul_f64 v[108:109], v[72:73], s[28:29]
	v_fma_f64 v[204:205], v[58:59], s[0:1], -v[136:137]
	v_add_f64 v[34:35], v[200:201], v[34:35]
	v_mul_f64 v[144:145], v[70:71], s[24:25]
	v_mul_f64 v[146:147], v[56:57], s[24:25]
	v_fma_f64 v[122:123], v[54:55], s[10:11], -v[153:154]
	v_fma_f64 v[124:125], v[52:53], s[10:11], v[155:156]
	v_add_f64 v[8:9], v[14:15], v[8:9]
	v_add_f64 v[10:11], v[18:19], v[10:11]
	v_mul_f64 v[14:15], v[50:51], s[16:17]
	v_mul_f64 v[18:19], v[48:49], s[16:17]
	v_fma_f64 v[48:49], v[54:55], s[20:21], -v[110:111]
	v_fma_f64 v[50:51], v[52:53], s[20:21], v[126:127]
	v_add_f64 v[16:17], v[20:21], v[16:17]
	v_add_f64 v[20:21], v[32:33], v[38:39]
	v_fma_f64 v[32:33], v[54:55], s[20:21], v[110:111]
	v_fma_f64 v[38:39], v[52:53], s[20:21], -v[126:127]
	v_fma_f64 v[110:111], v[88:89], s[20:21], v[149:150]
	v_fma_f64 v[126:127], v[90:91], s[20:21], -v[151:152]
	v_add_f64 v[42:43], v[44:45], v[42:43]
	v_add_f64 v[28:29], v[46:47], v[28:29]
	v_fma_f64 v[44:45], v[88:89], s[0:1], -v[96:97]
	v_fma_f64 v[46:47], v[90:91], s[0:1], v[102:103]
	v_fma_f64 v[96:97], v[88:89], s[0:1], v[96:97]
	v_fma_f64 v[102:103], v[90:91], s[0:1], -v[102:103]
	v_add_f64 v[4:5], v[36:37], v[4:5]
	v_mul_f64 v[36:37], v[78:79], s[28:29]
	v_fma_f64 v[138:139], v[68:69], s[18:19], v[108:109]
	v_add_f64 v[34:35], v[204:205], v[34:35]
	v_fma_f64 v[128:129], v[54:55], s[10:11], v[153:154]
	v_fma_f64 v[130:131], v[52:53], s[10:11], -v[155:156]
	v_fma_f64 v[140:141], v[88:89], s[10:11], -v[14:15]
	v_fma_f64 v[142:143], v[90:91], s[10:11], v[18:19]
	v_fma_f64 v[14:15], v[88:89], s[10:11], v[14:15]
	v_fma_f64 v[18:19], v[90:91], s[10:11], -v[18:19]
	v_fma_f64 v[90:91], v[82:83], s[10:11], v[161:162]
	v_mul_lo_u16 v170, v167, 13
	s_barrier
	v_add_f64 v[88:89], v[110:111], v[98:99]
	v_add_f64 v[30:31], v[126:127], v[30:31]
	v_fma_f64 v[98:99], v[84:85], s[10:11], -v[163:164]
	v_mul_f64 v[110:111], v[86:87], s[28:29]
	v_add_f64 v[12:13], v[44:45], v[12:13]
	v_add_f64 v[22:23], v[46:47], v[22:23]
	v_fma_f64 v[44:45], v[82:83], s[6:7], -v[132:133]
	v_fma_f64 v[46:47], v[84:85], s[6:7], v[134:135]
	v_mul_f64 v[126:127], v[80:81], s[28:29]
	v_add_f64 v[96:97], v[96:97], v[100:101]
	v_add_f64 v[100:101], v[102:103], v[104:105]
	v_fma_f64 v[102:103], v[82:83], s[6:7], v[132:133]
	v_fma_f64 v[104:105], v[84:85], s[6:7], -v[134:135]
	v_fma_f64 v[132:133], v[82:83], s[20:21], -v[94:95]
	v_add_f64 v[106:107], v[140:141], v[106:107]
	v_add_f64 v[114:115], v[142:143], v[114:115]
	v_fma_f64 v[134:135], v[84:85], s[20:21], v[92:93]
	v_mul_f64 v[86:87], v[86:87], s[24:25]
	v_mul_f64 v[80:81], v[80:81], s[24:25]
	v_add_f64 v[0:1], v[14:15], v[0:1]
	v_add_f64 v[2:3], v[18:19], v[2:3]
	v_fma_f64 v[14:15], v[82:83], s[20:21], v[94:95]
	v_fma_f64 v[18:19], v[84:85], s[20:21], -v[92:93]
	v_add_f64 v[82:83], v[90:91], v[88:89]
	v_add_f64 v[30:31], v[98:99], v[30:31]
	v_fma_f64 v[84:85], v[74:75], s[0:1], v[112:113]
	v_fma_f64 v[88:89], v[76:77], s[0:1], -v[116:117]
	v_mul_f64 v[90:91], v[78:79], s[16:17]
	v_add_f64 v[12:13], v[44:45], v[12:13]
	v_add_f64 v[22:23], v[46:47], v[22:23]
	v_fma_f64 v[44:45], v[74:75], s[18:19], -v[110:111]
	v_fma_f64 v[46:47], v[76:77], s[18:19], v[126:127]
	v_mul_f64 v[92:93], v[72:73], s[16:17]
	v_add_f64 v[94:95], v[102:103], v[96:97]
	v_add_f64 v[96:97], v[104:105], v[100:101]
	v_fma_f64 v[98:99], v[74:75], s[18:19], v[110:111]
	v_fma_f64 v[100:101], v[76:77], s[18:19], -v[126:127]
	v_add_f64 v[102:103], v[132:133], v[106:107]
	v_add_f64 v[104:105], v[134:135], v[114:115]
	v_fma_f64 v[106:107], v[74:75], s[6:7], -v[86:87]
	v_fma_f64 v[110:111], v[76:77], s[6:7], v[80:81]
	v_mul_f64 v[78:79], v[78:79], s[8:9]
	v_mul_f64 v[72:73], v[72:73], s[8:9]
	v_add_f64 v[0:1], v[14:15], v[0:1]
	v_add_f64 v[2:3], v[18:19], v[2:3]
	v_fma_f64 v[14:15], v[74:75], s[6:7], v[86:87]
	v_fma_f64 v[18:19], v[76:77], s[6:7], -v[80:81]
	v_fma_f64 v[136:137], v[58:59], s[18:19], -v[36:37]
	v_add_f64 v[74:75], v[84:85], v[82:83]
	v_add_f64 v[30:31], v[88:89], v[30:31]
	v_fma_f64 v[36:37], v[58:59], s[18:19], v[36:37]
	v_fma_f64 v[76:77], v[68:69], s[18:19], -v[108:109]
	v_add_f64 v[12:13], v[44:45], v[12:13]
	v_add_f64 v[22:23], v[46:47], v[22:23]
	v_fma_f64 v[44:45], v[58:59], s[10:11], -v[90:91]
	v_fma_f64 v[46:47], v[68:69], s[10:11], v[92:93]
	v_mul_f64 v[80:81], v[70:71], s[8:9]
	v_mul_f64 v[82:83], v[56:57], s[8:9]
	v_add_f64 v[84:85], v[98:99], v[94:95]
	v_add_f64 v[86:87], v[100:101], v[96:97]
	v_fma_f64 v[88:89], v[58:59], s[10:11], v[90:91]
	v_fma_f64 v[90:91], v[68:69], s[10:11], -v[92:93]
	v_add_f64 v[92:93], v[106:107], v[102:103]
	v_add_f64 v[94:95], v[110:111], v[104:105]
	v_fma_f64 v[96:97], v[58:59], s[2:3], -v[78:79]
	v_fma_f64 v[98:99], v[68:69], s[2:3], v[72:73]
	v_mul_f64 v[70:71], v[70:71], s[26:27]
	v_mul_f64 v[56:57], v[56:57], s[26:27]
	v_add_f64 v[0:1], v[14:15], v[0:1]
	v_add_f64 v[2:3], v[18:19], v[2:3]
	v_fma_f64 v[14:15], v[58:59], s[2:3], v[78:79]
	v_fma_f64 v[18:19], v[68:69], s[2:3], -v[72:73]
	v_add_f64 v[42:43], v[136:137], v[42:43]
	v_add_f64 v[28:29], v[138:139], v[28:29]
	v_fma_f64 v[58:59], v[54:55], s[6:7], -v[144:145]
	v_fma_f64 v[78:79], v[52:53], s[6:7], v[146:147]
	v_add_f64 v[36:37], v[36:37], v[74:75]
	v_add_f64 v[30:31], v[76:77], v[30:31]
	v_fma_f64 v[112:113], v[54:55], s[6:7], v[144:145]
	v_fma_f64 v[114:115], v[52:53], s[6:7], -v[146:147]
	v_add_f64 v[12:13], v[44:45], v[12:13]
	v_add_f64 v[22:23], v[46:47], v[22:23]
	v_fma_f64 v[44:45], v[54:55], s[2:3], -v[80:81]
	v_fma_f64 v[46:47], v[52:53], s[2:3], v[82:83]
	;; [unrolled: 8-line block ×3, first 2 shown]
	v_add_f64 v[0:1], v[14:15], v[0:1]
	v_add_f64 v[2:3], v[18:19], v[2:3]
	v_fma_f64 v[14:15], v[54:55], s[0:1], v[70:71]
	v_fma_f64 v[18:19], v[52:53], s[0:1], -v[56:57]
	v_add_f64 v[108:109], v[120:121], v[24:25]
	v_add_f64 v[110:111], v[118:119], v[26:27]
	;; [unrolled: 1-line block ×22, first 2 shown]
	buffer_gl0_inv
	s_and_saveexec_b32 s0, vcc_lo
	s_cbranch_execz .LBB0_7
; %bb.6:
	v_mov_b32_e32 v0, 4
	v_lshlrev_b32_sdwa v0, v0, v170 dst_sel:DWORD dst_unused:UNUSED_PAD src0_sel:DWORD src1_sel:WORD_0
	ds_write_b128 v0, v[60:63]
	ds_write_b128 v0, v[64:67] offset:16
	ds_write_b128 v0, v[68:71] offset:32
	;; [unrolled: 1-line block ×12, first 2 shown]
.LBB0_7:
	s_or_b32 exec_lo, exec_lo, s0
	s_clause 0x1
	s_load_dwordx2 s[2:3], s[4:5], 0x20
	s_load_dwordx2 s[4:5], s[4:5], 0x8
	v_cmp_gt_u16_e64 s0, 0x41, v167
	s_waitcnt lgkmcnt(0)
	s_barrier
	buffer_gl0_inv
                                        ; implicit-def: $vgpr120_vgpr121
                                        ; implicit-def: $vgpr116_vgpr117
                                        ; implicit-def: $vgpr112_vgpr113
	s_and_saveexec_b32 s1, s0
	s_cbranch_execz .LBB0_9
; %bb.8:
	ds_read_b128 v[60:63], v165
	ds_read_b128 v[64:67], v165 offset:1040
	ds_read_b128 v[68:71], v165 offset:2080
	;; [unrolled: 1-line block ×15, first 2 shown]
.LBB0_9:
	s_or_b32 exec_lo, exec_lo, s1
	v_and_b32_e32 v0, 0xff, v167
	s_mov_b32 s6, 0x667f3bcd
	s_mov_b32 s7, 0xbfe6a09e
	;; [unrolled: 1-line block ×4, first 2 shown]
	v_mul_lo_u16 v0, 0x4f, v0
	s_mov_b32 s10, 0xcf328d46
	s_mov_b32 s16, 0xa6aea964
	;; [unrolled: 1-line block ×4, first 2 shown]
	v_lshrrev_b16 v169, 10, v0
	s_mov_b32 s19, 0x3fd87de2
	s_mov_b32 s21, 0x3fed906b
	;; [unrolled: 1-line block ×4, first 2 shown]
	v_mul_lo_u16 v0, v169, 13
	v_sub_nc_u16 v0, v167, v0
	v_and_b32_e32 v168, 0xff, v0
	v_mad_u64_u32 v[52:53], null, 0xf0, v168, s[4:5]
	s_clause 0xe
	global_load_dwordx4 v[0:3], v[52:53], off
	global_load_dwordx4 v[12:15], v[52:53], off offset:16
	global_load_dwordx4 v[8:11], v[52:53], off offset:32
	global_load_dwordx4 v[4:7], v[52:53], off offset:48
	global_load_dwordx4 v[20:23], v[52:53], off offset:64
	global_load_dwordx4 v[44:47], v[52:53], off offset:80
	global_load_dwordx4 v[24:27], v[52:53], off offset:96
	global_load_dwordx4 v[16:19], v[52:53], off offset:112
	global_load_dwordx4 v[28:31], v[52:53], off offset:128
	global_load_dwordx4 v[40:43], v[52:53], off offset:144
	global_load_dwordx4 v[36:39], v[52:53], off offset:160
	global_load_dwordx4 v[32:35], v[52:53], off offset:176
	global_load_dwordx4 v[48:51], v[52:53], off offset:192
	global_load_dwordx4 v[56:59], v[52:53], off offset:208
	global_load_dwordx4 v[52:55], v[52:53], off offset:224
	s_waitcnt vmcnt(0) lgkmcnt(0)
	s_barrier
	buffer_gl0_inv
	v_mul_f64 v[124:125], v[66:67], v[2:3]
	v_mul_f64 v[126:127], v[64:65], v[2:3]
	;; [unrolled: 1-line block ×30, first 2 shown]
	v_fma_f64 v[64:65], v[64:65], v[0:1], -v[124:125]
	v_fma_f64 v[66:67], v[66:67], v[0:1], v[126:127]
	v_fma_f64 v[68:69], v[68:69], v[12:13], -v[128:129]
	v_fma_f64 v[70:71], v[70:71], v[12:13], v[130:131]
	;; [unrolled: 2-line block ×6, first 2 shown]
	v_fma_f64 v[86:87], v[86:87], v[24:25], v[151:152]
	v_fma_f64 v[96:97], v[96:97], v[16:17], -v[153:154]
	v_fma_f64 v[98:99], v[98:99], v[16:17], v[155:156]
	v_fma_f64 v[108:109], v[108:109], v[32:33], -v[175:176]
	;; [unrolled: 2-line block ×5, first 2 shown]
	v_fma_f64 v[94:95], v[94:95], v[28:29], v[159:160]
	v_fma_f64 v[114:115], v[114:115], v[48:49], v[181:182]
	v_fma_f64 v[100:101], v[100:101], v[36:37], -v[171:172]
	v_fma_f64 v[122:123], v[122:123], v[52:53], v[189:190]
	v_fma_f64 v[84:85], v[84:85], v[24:25], -v[149:150]
	v_fma_f64 v[112:113], v[112:113], v[48:49], -v[179:180]
	v_fma_f64 v[102:103], v[102:103], v[36:37], v[173:174]
	v_fma_f64 v[120:121], v[120:121], v[52:53], -v[187:188]
	v_add_f64 v[96:97], v[60:61], -v[96:97]
	v_add_f64 v[98:99], v[62:63], -v[98:99]
	;; [unrolled: 1-line block ×16, first 2 shown]
	v_fma_f64 v[60:61], v[60:61], 2.0, -v[96:97]
	v_fma_f64 v[62:63], v[62:63], 2.0, -v[98:99]
	;; [unrolled: 1-line block ×4, first 2 shown]
	v_add_f64 v[110:111], v[96:97], -v[110:111]
	v_add_f64 v[108:109], v[98:99], v[108:109]
	v_fma_f64 v[88:89], v[88:89], 2.0, -v[116:117]
	v_fma_f64 v[90:91], v[90:91], 2.0, -v[118:119]
	v_add_f64 v[116:117], v[106:107], v[116:117]
	v_add_f64 v[118:119], v[104:105], -v[118:119]
	v_add_f64 v[124:125], v[92:93], -v[114:115]
	v_fma_f64 v[68:69], v[68:69], 2.0, -v[104:105]
	v_add_f64 v[126:127], v[100:101], -v[122:123]
	v_fma_f64 v[70:71], v[70:71], 2.0, -v[106:107]
	v_add_f64 v[128:129], v[94:95], v[112:113]
	v_fma_f64 v[64:65], v[64:65], 2.0, -v[92:93]
	v_add_f64 v[130:131], v[102:103], v[120:121]
	v_fma_f64 v[66:67], v[66:67], 2.0, -v[94:95]
	v_fma_f64 v[80:81], v[80:81], 2.0, -v[112:113]
	;; [unrolled: 1-line block ×7, first 2 shown]
	v_add_f64 v[76:77], v[60:61], -v[76:77]
	v_add_f64 v[78:79], v[62:63], -v[78:79]
	v_fma_f64 v[96:97], v[96:97], 2.0, -v[110:111]
	v_fma_f64 v[98:99], v[98:99], 2.0, -v[108:109]
	v_fma_f64 v[106:107], v[106:107], 2.0, -v[116:117]
	v_fma_f64 v[104:105], v[104:105], 2.0, -v[118:119]
	v_fma_f64 v[92:93], v[92:93], 2.0, -v[124:125]
	v_add_f64 v[88:89], v[68:69], -v[88:89]
	v_fma_f64 v[100:101], v[100:101], 2.0, -v[126:127]
	v_add_f64 v[90:91], v[70:71], -v[90:91]
	v_fma_f64 v[94:95], v[94:95], 2.0, -v[128:129]
	v_fma_f64 v[112:113], v[118:119], s[8:9], v[110:111]
	v_fma_f64 v[102:103], v[102:103], 2.0, -v[130:131]
	v_fma_f64 v[114:115], v[116:117], s[8:9], v[108:109]
	v_add_f64 v[80:81], v[64:65], -v[80:81]
	v_add_f64 v[82:83], v[66:67], -v[82:83]
	v_fma_f64 v[120:121], v[126:127], s[8:9], v[124:125]
	v_fma_f64 v[122:123], v[130:131], s[8:9], v[128:129]
	v_add_f64 v[86:87], v[74:75], -v[86:87]
	v_add_f64 v[84:85], v[72:73], -v[84:85]
	v_fma_f64 v[136:137], v[106:107], s[6:7], v[98:99]
	v_fma_f64 v[138:139], v[104:105], s[6:7], v[96:97]
	v_add_f64 v[142:143], v[78:79], v[88:89]
	v_fma_f64 v[132:133], v[100:101], s[6:7], v[92:93]
	v_add_f64 v[140:141], v[76:77], -v[90:91]
	v_fma_f64 v[68:69], v[68:69], 2.0, -v[88:89]
	v_fma_f64 v[149:150], v[116:117], s[6:7], v[112:113]
	v_fma_f64 v[134:135], v[102:103], s[6:7], v[94:95]
	v_fma_f64 v[151:152], v[118:119], s[8:9], v[114:115]
	v_fma_f64 v[116:117], v[60:61], 2.0, -v[76:77]
	v_fma_f64 v[118:119], v[62:63], 2.0, -v[78:79]
	v_fma_f64 v[112:113], v[130:131], s[6:7], v[120:121]
	v_fma_f64 v[114:115], v[126:127], s[8:9], v[122:123]
	v_add_f64 v[144:145], v[80:81], -v[86:87]
	v_add_f64 v[146:147], v[82:83], v[84:85]
	v_fma_f64 v[126:127], v[64:65], 2.0, -v[80:81]
	v_fma_f64 v[66:67], v[66:67], 2.0, -v[82:83]
	;; [unrolled: 1-line block ×5, first 2 shown]
	v_fma_f64 v[90:91], v[106:107], s[6:7], v[138:139]
	v_fma_f64 v[70:71], v[78:79], 2.0, -v[142:143]
	v_fma_f64 v[86:87], v[102:103], s[6:7], v[132:133]
	v_fma_f64 v[102:103], v[104:105], s[8:9], v[136:137]
	v_fma_f64 v[60:61], v[76:77], 2.0, -v[140:141]
	v_fma_f64 v[74:75], v[110:111], 2.0, -v[149:150]
	v_fma_f64 v[88:89], v[100:101], s[8:9], v[134:135]
	v_fma_f64 v[120:121], v[108:109], 2.0, -v[151:152]
	v_fma_f64 v[124:125], v[124:125], 2.0, -v[112:113]
	;; [unrolled: 1-line block ×3, first 2 shown]
	v_fma_f64 v[84:85], v[144:145], s[8:9], v[140:141]
	v_fma_f64 v[100:101], v[146:147], s[8:9], v[142:143]
	v_fma_f64 v[106:107], v[80:81], 2.0, -v[144:145]
	v_fma_f64 v[104:105], v[82:83], 2.0, -v[146:147]
	v_add_f64 v[108:109], v[126:127], -v[62:63]
	v_add_f64 v[110:111], v[66:67], -v[64:65]
	;; [unrolled: 1-line block ×4, first 2 shown]
	v_fma_f64 v[76:77], v[112:113], s[20:21], v[149:150]
	v_fma_f64 v[64:65], v[96:97], 2.0, -v[90:91]
	v_fma_f64 v[130:131], v[92:93], 2.0, -v[86:87]
	v_fma_f64 v[72:73], v[98:99], 2.0, -v[102:103]
	v_fma_f64 v[78:79], v[86:87], s[18:19], v[90:91]
	v_fma_f64 v[132:133], v[94:95], 2.0, -v[88:89]
	v_fma_f64 v[92:93], v[88:89], s[18:19], v[102:103]
	v_fma_f64 v[94:95], v[114:115], s[20:21], v[151:152]
	v_fma_f64 v[134:135], v[124:125], s[16:17], v[74:75]
	v_fma_f64 v[136:137], v[128:129], s[16:17], v[120:121]
	v_fma_f64 v[80:81], v[146:147], s[6:7], v[84:85]
	v_fma_f64 v[82:83], v[144:145], s[8:9], v[100:101]
	v_fma_f64 v[96:97], v[106:107], s[6:7], v[60:61]
	v_fma_f64 v[98:99], v[104:105], s[6:7], v[70:71]
	v_fma_f64 v[126:127], v[126:127], 2.0, -v[108:109]
	v_fma_f64 v[138:139], v[66:67], 2.0, -v[110:111]
	;; [unrolled: 1-line block ×4, first 2 shown]
	v_fma_f64 v[84:85], v[114:115], s[16:17], v[76:77]
	v_add_f64 v[116:117], v[62:63], -v[110:111]
	v_add_f64 v[118:119], v[122:123], v[108:109]
	v_fma_f64 v[144:145], v[130:131], s[10:11], v[64:65]
	v_fma_f64 v[76:77], v[88:89], s[10:11], v[78:79]
	;; [unrolled: 1-line block ×7, first 2 shown]
	v_fma_f64 v[92:93], v[140:141], 2.0, -v[80:81]
	v_fma_f64 v[94:95], v[142:143], 2.0, -v[82:83]
	v_fma_f64 v[104:105], v[104:105], s[6:7], v[96:97]
	v_fma_f64 v[106:107], v[106:107], s[8:9], v[98:99]
	v_add_f64 v[96:97], v[66:67], -v[126:127]
	v_add_f64 v[98:99], v[68:69], -v[138:139]
	v_fma_f64 v[100:101], v[149:150], 2.0, -v[84:85]
	v_fma_f64 v[108:109], v[132:133], s[16:17], v[144:145]
	v_fma_f64 v[88:89], v[90:91], 2.0, -v[76:77]
	v_fma_f64 v[110:111], v[130:131], s[18:19], v[146:147]
	v_fma_f64 v[90:91], v[102:103], 2.0, -v[78:79]
	v_fma_f64 v[102:103], v[151:152], 2.0, -v[86:87]
	s_and_saveexec_b32 s1, s0
	s_cbranch_execz .LBB0_11
; %bb.10:
	v_fma_f64 v[126:127], v[120:121], 2.0, -v[114:115]
	v_mov_b32_e32 v120, 0xd0
	v_fma_f64 v[130:131], v[68:69], 2.0, -v[98:99]
	v_fma_f64 v[128:129], v[66:67], 2.0, -v[96:97]
	;; [unrolled: 1-line block ×7, first 2 shown]
	v_mul_u32_u24_sdwa v60, v169, v120 dst_sel:DWORD dst_unused:UNUSED_PAD src0_sel:WORD_0 src1_sel:DWORD
	v_fma_f64 v[122:123], v[122:123], 2.0, -v[118:119]
	v_fma_f64 v[120:121], v[62:63], 2.0, -v[116:117]
	v_or_b32_e32 v60, v60, v168
	v_lshlrev_b32_e32 v60, 4, v60
	ds_write_b128 v60, v[88:91] offset:1040
	ds_write_b128 v60, v[92:95] offset:1248
	;; [unrolled: 1-line block ×4, first 2 shown]
	ds_write_b128 v60, v[128:131]
	ds_write_b128 v60, v[72:75] offset:208
	ds_write_b128 v60, v[68:71] offset:416
	;; [unrolled: 1-line block ×11, first 2 shown]
.LBB0_11:
	s_or_b32 exec_lo, exec_lo, s1
	v_lshlrev_b32_e32 v60, 6, v167
	s_mov_b32 s9, 0xbfee6f0e
	v_add_co_u32 v62, s1, s4, v60
	v_add_co_ci_u32_e64 v63, null, s5, 0, s1
	s_load_dwordx4 s[4:7], s[2:3], 0x0
	v_add_co_u32 v60, s1, 0x800, v62
	v_add_co_ci_u32_e64 v61, s1, 0, v63, s1
	v_add_co_u32 v64, s1, 0xc30, v62
	v_add_co_ci_u32_e64 v65, s1, 0, v63, s1
	s_waitcnt lgkmcnt(0)
	s_barrier
	buffer_gl0_inv
	s_clause 0x3
	global_load_dwordx4 v[60:63], v[60:61], off offset:1072
	global_load_dwordx4 v[72:75], v[64:65], off offset:16
	;; [unrolled: 1-line block ×4, first 2 shown]
	ds_read_b128 v[120:123], v165 offset:3328
	ds_read_b128 v[124:127], v165 offset:6656
	;; [unrolled: 1-line block ×4, first 2 shown]
	s_mov_b32 s2, 0x134454ff
	s_mov_b32 s3, 0x3fee6f0e
	;; [unrolled: 1-line block ×3, first 2 shown]
	s_waitcnt vmcnt(3) lgkmcnt(3)
	v_mul_f64 v[136:137], v[122:123], v[62:63]
	s_waitcnt vmcnt(2) lgkmcnt(2)
	v_mul_f64 v[138:139], v[126:127], v[74:75]
	;; [unrolled: 2-line block ×3, first 2 shown]
	v_mul_f64 v[142:143], v[120:121], v[62:63]
	s_waitcnt vmcnt(0) lgkmcnt(0)
	v_mul_f64 v[144:145], v[134:135], v[66:67]
	v_mul_f64 v[146:147], v[124:125], v[74:75]
	;; [unrolled: 1-line block ×4, first 2 shown]
	v_fma_f64 v[136:137], v[120:121], v[60:61], -v[136:137]
	v_fma_f64 v[124:125], v[124:125], v[72:73], -v[138:139]
	;; [unrolled: 1-line block ×3, first 2 shown]
	v_fma_f64 v[138:139], v[122:123], v[60:61], v[142:143]
	v_fma_f64 v[132:133], v[132:133], v[64:65], -v[144:145]
	v_fma_f64 v[126:127], v[126:127], v[72:73], v[146:147]
	v_fma_f64 v[130:131], v[130:131], v[68:69], v[149:150]
	;; [unrolled: 1-line block ×3, first 2 shown]
	ds_read_b128 v[120:123], v165
	v_add_f64 v[140:141], v[124:125], v[128:129]
	v_add_f64 v[142:143], v[136:137], v[132:133]
	v_add_f64 v[157:158], v[136:137], -v[132:133]
	v_add_f64 v[144:145], v[126:127], v[130:131]
	v_add_f64 v[146:147], v[138:139], v[134:135]
	s_waitcnt lgkmcnt(0)
	v_add_f64 v[149:150], v[120:121], v[136:137]
	v_add_f64 v[151:152], v[138:139], -v[134:135]
	v_add_f64 v[153:154], v[126:127], -v[130:131]
	v_add_f64 v[155:156], v[122:123], v[138:139]
	v_add_f64 v[159:160], v[132:133], -v[128:129]
	v_add_f64 v[161:162], v[128:129], -v[132:133]
	;; [unrolled: 1-line block ×6, first 2 shown]
	v_fma_f64 v[140:141], v[140:141], -0.5, v[120:121]
	v_fma_f64 v[120:121], v[142:143], -0.5, v[120:121]
	v_add_f64 v[142:143], v[124:125], -v[128:129]
	v_fma_f64 v[144:145], v[144:145], -0.5, v[122:123]
	v_fma_f64 v[122:123], v[146:147], -0.5, v[122:123]
	v_add_f64 v[146:147], v[136:137], -v[124:125]
	v_add_f64 v[136:137], v[124:125], -v[136:137]
	v_add_f64 v[124:125], v[149:150], v[124:125]
	v_add_f64 v[126:127], v[155:156], v[126:127]
	;; [unrolled: 1-line block ×3, first 2 shown]
	v_fma_f64 v[149:150], v[151:152], s[2:3], v[140:141]
	v_fma_f64 v[140:141], v[151:152], s[8:9], v[140:141]
	;; [unrolled: 1-line block ×8, first 2 shown]
	s_mov_b32 s2, 0x4755a5e
	s_mov_b32 s3, 0x3fe2cf23
	;; [unrolled: 1-line block ×4, first 2 shown]
	v_add_f64 v[146:147], v[146:147], v[159:160]
	v_add_f64 v[159:160], v[136:137], v[161:162]
	v_add_f64 v[161:162], v[163:164], v[171:172]
	v_add_f64 v[124:125], v[124:125], v[128:129]
	v_add_f64 v[126:127], v[126:127], v[130:131]
	v_fma_f64 v[128:129], v[153:154], s[2:3], v[149:150]
	v_fma_f64 v[130:131], v[153:154], s[8:9], v[140:141]
	;; [unrolled: 1-line block ×8, first 2 shown]
	s_mov_b32 s2, 0x372fe950
	s_mov_b32 s3, 0x3fd3c6ef
	v_add_f64 v[120:121], v[124:125], v[132:133]
	v_add_f64 v[122:123], v[126:127], v[134:135]
	v_fma_f64 v[124:125], v[146:147], s[2:3], v[128:129]
	v_fma_f64 v[136:137], v[146:147], s[2:3], v[130:131]
	v_fma_f64 v[128:129], v[159:160], s[2:3], v[140:141]
	v_fma_f64 v[132:133], v[159:160], s[2:3], v[149:150]
	v_fma_f64 v[126:127], v[161:162], s[2:3], v[151:152]
	v_fma_f64 v[130:131], v[138:139], s[2:3], v[153:154]
	v_fma_f64 v[134:135], v[138:139], s[2:3], v[155:156]
	v_fma_f64 v[138:139], v[161:162], s[2:3], v[142:143]
	ds_write_b128 v165, v[120:123]
	ds_write_b128 v165, v[124:127] offset:3328
	ds_write_b128 v165, v[128:131] offset:6656
	;; [unrolled: 1-line block ×4, first 2 shown]
	s_waitcnt lgkmcnt(0)
	s_barrier
	buffer_gl0_inv
	s_and_saveexec_b32 s8, vcc_lo
	s_cbranch_execz .LBB0_13
; %bb.12:
	s_add_u32 s2, s14, 0x4100
	s_addc_u32 s3, s15, 0
	v_or_b32_e32 v149, 0x2800, v165
	s_clause 0x1
	global_load_dwordx4 v[140:143], v165, s[2:3]
	global_load_dwordx4 v[144:147], v165, s[2:3] offset:1280
	v_add_co_u32 v209, s1, s2, v165
	v_add_co_ci_u32_e64 v210, null, s3, 0, s1
	global_load_dwordx4 v[149:152], v149, s[2:3]
	v_add_co_u32 v157, s1, 0x800, v209
	v_add_co_ci_u32_e64 v158, s1, 0, v210, s1
	v_add_co_u32 v161, s1, 0x1000, v209
	s_clause 0x1
	global_load_dwordx4 v[153:156], v[157:158], off offset:512
	global_load_dwordx4 v[157:160], v[157:158], off offset:1792
	v_add_co_ci_u32_e64 v162, s1, 0, v210, s1
	v_add_co_u32 v195, s1, 0x1800, v209
	v_add_co_ci_u32_e64 v196, s1, 0, v210, s1
	s_clause 0x1
	global_load_dwordx4 v[161:164], v[161:162], off offset:1024
	global_load_dwordx4 v[171:174], v[195:196], off offset:256
	ds_read_b128 v[175:178], v165
	ds_read_b128 v[179:182], v165 offset:1280
	ds_read_b128 v[183:186], v165 offset:15360
	;; [unrolled: 1-line block ×3, first 2 shown]
	s_waitcnt vmcnt(6) lgkmcnt(3)
	v_mul_f64 v[191:192], v[177:178], v[142:143]
	v_mul_f64 v[142:143], v[175:176], v[142:143]
	s_waitcnt vmcnt(5) lgkmcnt(2)
	v_mul_f64 v[197:198], v[181:182], v[146:147]
	v_mul_f64 v[146:147], v[179:180], v[146:147]
	v_fma_f64 v[175:176], v[175:176], v[140:141], -v[191:192]
	v_fma_f64 v[177:178], v[177:178], v[140:141], v[142:143]
	ds_read_b128 v[140:143], v165 offset:11520
	v_fma_f64 v[179:180], v[179:180], v[144:145], -v[197:198]
	s_waitcnt vmcnt(4) lgkmcnt(1)
	v_mul_f64 v[197:198], v[189:190], v[151:152]
	v_mul_f64 v[151:152], v[187:188], v[151:152]
	v_fma_f64 v[181:182], v[181:182], v[144:145], v[146:147]
	ds_read_b128 v[144:147], v165 offset:2560
	v_add_co_u32 v191, s1, 0x2800, v209
	v_add_co_ci_u32_e64 v192, s1, 0, v210, s1
	global_load_dwordx4 v[191:194], v[191:192], off offset:1280
	v_fma_f64 v[187:188], v[187:188], v[149:150], -v[197:198]
	v_fma_f64 v[189:190], v[189:190], v[149:150], v[151:152]
	ds_read_b128 v[149:152], v165 offset:3840
	s_waitcnt vmcnt(4) lgkmcnt(1)
	v_mul_f64 v[197:198], v[146:147], v[155:156]
	v_mul_f64 v[155:156], v[144:145], v[155:156]
	v_fma_f64 v[144:145], v[144:145], v[153:154], -v[197:198]
	s_waitcnt vmcnt(3) lgkmcnt(0)
	v_mul_f64 v[197:198], v[151:152], v[159:160]
	v_mul_f64 v[159:160], v[149:150], v[159:160]
	v_fma_f64 v[146:147], v[146:147], v[153:154], v[155:156]
	ds_read_b128 v[153:156], v165 offset:5120
	v_fma_f64 v[149:150], v[149:150], v[157:158], -v[197:198]
	v_fma_f64 v[151:152], v[151:152], v[157:158], v[159:160]
	ds_read_b128 v[157:160], v165 offset:6400
	s_waitcnt vmcnt(2) lgkmcnt(1)
	v_mul_f64 v[197:198], v[155:156], v[163:164]
	v_mul_f64 v[163:164], v[153:154], v[163:164]
	v_fma_f64 v[153:154], v[153:154], v[161:162], -v[197:198]
	v_fma_f64 v[155:156], v[155:156], v[161:162], v[163:164]
	global_load_dwordx4 v[161:164], v[195:196], off offset:1536
	s_waitcnt vmcnt(2) lgkmcnt(0)
	v_mul_f64 v[195:196], v[159:160], v[173:174]
	v_mul_f64 v[173:174], v[157:158], v[173:174]
	v_add_co_u32 v197, s1, 0x2000, v209
	v_add_co_ci_u32_e64 v198, s1, 0, v210, s1
	v_fma_f64 v[157:158], v[157:158], v[171:172], -v[195:196]
	v_fma_f64 v[159:160], v[159:160], v[171:172], v[173:174]
	global_load_dwordx4 v[171:174], v[197:198], off offset:768
	ds_read_b128 v[195:198], v165 offset:7680
	ds_read_b128 v[199:202], v165 offset:8960
	s_waitcnt vmcnt(1) lgkmcnt(1)
	v_mul_f64 v[203:204], v[197:198], v[163:164]
	v_mul_f64 v[163:164], v[195:196], v[163:164]
	v_fma_f64 v[195:196], v[195:196], v[161:162], -v[203:204]
	v_fma_f64 v[197:198], v[197:198], v[161:162], v[163:164]
	s_waitcnt vmcnt(0) lgkmcnt(0)
	v_mul_f64 v[161:162], v[201:202], v[173:174]
	v_mul_f64 v[163:164], v[199:200], v[173:174]
	;; [unrolled: 1-line block ×3, first 2 shown]
	v_fma_f64 v[161:162], v[199:200], v[171:172], -v[161:162]
	v_fma_f64 v[163:164], v[201:202], v[171:172], v[163:164]
	v_mul_f64 v[171:172], v[142:143], v[193:194]
	v_add_co_u32 v193, s1, 0x3000, v209
	v_add_co_ci_u32_e64 v194, s1, 0, v210, s1
	v_fma_f64 v[142:143], v[142:143], v[191:192], v[173:174]
	v_fma_f64 v[140:141], v[140:141], v[191:192], -v[171:172]
	s_clause 0x1
	global_load_dwordx4 v[171:174], v[193:194], off offset:512
	global_load_dwordx4 v[191:194], v[193:194], off offset:1792
	ds_read_b128 v[199:202], v165 offset:12800
	ds_read_b128 v[203:206], v165 offset:14080
	s_waitcnt vmcnt(1) lgkmcnt(1)
	v_mul_f64 v[207:208], v[201:202], v[173:174]
	v_mul_f64 v[173:174], v[199:200], v[173:174]
	v_fma_f64 v[199:200], v[199:200], v[171:172], -v[207:208]
	v_fma_f64 v[201:202], v[201:202], v[171:172], v[173:174]
	s_waitcnt vmcnt(0) lgkmcnt(0)
	v_mul_f64 v[171:172], v[205:206], v[193:194]
	v_mul_f64 v[173:174], v[203:204], v[193:194]
	v_fma_f64 v[171:172], v[203:204], v[191:192], -v[171:172]
	v_fma_f64 v[173:174], v[205:206], v[191:192], v[173:174]
	v_add_co_u32 v191, s1, 0x3800, v209
	v_add_co_ci_u32_e64 v192, s1, 0, v210, s1
	global_load_dwordx4 v[191:194], v[191:192], off offset:1024
	s_waitcnt vmcnt(0)
	v_mul_f64 v[203:204], v[185:186], v[193:194]
	v_mul_f64 v[193:194], v[183:184], v[193:194]
	v_fma_f64 v[183:184], v[183:184], v[191:192], -v[203:204]
	v_fma_f64 v[185:186], v[185:186], v[191:192], v[193:194]
	ds_write_b128 v165, v[175:178]
	ds_write_b128 v165, v[179:182] offset:1280
	ds_write_b128 v165, v[187:190] offset:10240
	;; [unrolled: 1-line block ×12, first 2 shown]
.LBB0_13:
	s_or_b32 exec_lo, exec_lo, s8
	s_waitcnt lgkmcnt(0)
	s_barrier
	buffer_gl0_inv
	s_and_saveexec_b32 s1, vcc_lo
	s_cbranch_execz .LBB0_15
; %bb.14:
	ds_read_b128 v[120:123], v165
	ds_read_b128 v[124:127], v165 offset:1280
	ds_read_b128 v[128:131], v165 offset:2560
	;; [unrolled: 1-line block ×12, first 2 shown]
.LBB0_15:
	s_or_b32 exec_lo, exec_lo, s1
	s_waitcnt lgkmcnt(11)
	v_add_f64 v[140:141], v[120:121], v[124:125]
	v_add_f64 v[142:143], v[122:123], v[126:127]
	s_waitcnt lgkmcnt(5)
	v_add_f64 v[146:147], v[92:93], v[100:101]
	v_add_f64 v[149:150], v[94:95], v[102:103]
	v_add_f64 v[144:145], v[92:93], -v[100:101]
	v_add_f64 v[151:152], v[94:95], -v[102:103]
	s_waitcnt lgkmcnt(4)
	v_add_f64 v[153:154], v[98:99], v[90:91]
	v_add_f64 v[155:156], v[90:91], -v[98:99]
	s_mov_b32 s26, 0x4267c47c
	s_mov_b32 s16, 0x42a4c3d2
	;; [unrolled: 1-line block ×10, first 2 shown]
	s_waitcnt lgkmcnt(3)
	v_add_f64 v[157:158], v[108:109], v[136:137]
	s_waitcnt lgkmcnt(2)
	v_add_f64 v[161:162], v[104:105], v[132:133]
	v_add_f64 v[163:164], v[106:107], v[134:135]
	s_mov_b32 s36, 0xe00740e9
	v_add_f64 v[140:141], v[128:129], v[140:141]
	v_add_f64 v[142:143], v[130:131], v[142:143]
	s_mov_b32 s24, 0x1ea71119
	s_mov_b32 s10, 0xebaa3ed8
	;; [unrolled: 1-line block ×11, first 2 shown]
	v_add_f64 v[159:160], v[110:111], v[138:139]
	s_waitcnt lgkmcnt(1)
	v_add_f64 v[171:172], v[112:113], v[128:129]
	v_add_f64 v[173:174], v[114:115], v[130:131]
	v_add_f64 v[175:176], v[128:129], -v[112:113]
	v_add_f64 v[177:178], v[130:131], -v[114:115]
	s_mov_b32 s45, 0x3fcea1e5
	s_mov_b32 s44, s46
	;; [unrolled: 1-line block ×4, first 2 shown]
	v_add_f64 v[140:141], v[132:133], v[140:141]
	v_add_f64 v[142:143], v[134:135], v[142:143]
	v_add_f64 v[132:133], v[132:133], -v[104:105]
	v_add_f64 v[134:135], v[134:135], -v[106:107]
	s_mov_b32 s21, 0x3fefc445
	s_mov_b32 s29, 0x3fedeba7
	;; [unrolled: 1-line block ×8, first 2 shown]
	s_waitcnt lgkmcnt(0)
	s_barrier
	buffer_gl0_inv
	v_add_f64 v[140:141], v[136:137], v[140:141]
	v_add_f64 v[142:143], v[138:139], v[142:143]
	v_add_f64 v[136:137], v[136:137], -v[108:109]
	v_add_f64 v[138:139], v[138:139], -v[110:111]
	v_add_f64 v[140:141], v[88:89], v[140:141]
	v_add_f64 v[142:143], v[90:91], v[142:143]
	;; [unrolled: 1-line block ×7, first 2 shown]
	v_add_f64 v[140:141], v[88:89], -v[96:97]
	v_add_f64 v[88:89], v[96:97], v[92:93]
	v_add_f64 v[90:91], v[98:99], v[94:95]
	v_add_f64 v[92:93], v[126:127], -v[118:119]
	v_add_f64 v[94:95], v[116:117], v[124:125]
	v_add_f64 v[96:97], v[118:119], v[126:127]
	;; [unrolled: 3-line block ×3, first 2 shown]
	v_mul_f64 v[100:101], v[92:93], s[26:27]
	v_mul_f64 v[102:103], v[92:93], s[16:17]
	;; [unrolled: 1-line block ×7, first 2 shown]
	v_add_f64 v[88:89], v[104:105], v[88:89]
	v_add_f64 v[90:91], v[106:107], v[90:91]
	v_mul_f64 v[104:105], v[92:93], s[2:3]
	v_mul_f64 v[106:107], v[92:93], s[8:9]
	;; [unrolled: 1-line block ×3, first 2 shown]
	v_fma_f64 v[110:111], v[94:95], s[36:37], v[100:101]
	v_fma_f64 v[100:101], v[94:95], s[36:37], -v[100:101]
	v_fma_f64 v[183:184], v[98:99], s[34:35], v[126:127]
	v_fma_f64 v[126:127], v[98:99], s[16:17], v[126:127]
	v_fma_f64 v[185:186], v[98:99], s[20:21], v[128:129]
	v_fma_f64 v[128:129], v[98:99], s[2:3], v[128:129]
	v_fma_f64 v[187:188], v[98:99], s[28:29], v[130:131]
	v_fma_f64 v[130:131], v[98:99], s[8:9], v[130:131]
	v_fma_f64 v[189:190], v[98:99], s[38:39], v[179:180]
	v_fma_f64 v[179:180], v[98:99], s[22:23], v[179:180]
	v_add_f64 v[88:89], v[112:113], v[88:89]
	v_add_f64 v[90:91], v[114:115], v[90:91]
	v_fma_f64 v[112:113], v[94:95], s[24:25], v[102:103]
	v_fma_f64 v[102:103], v[94:95], s[24:25], -v[102:103]
	v_fma_f64 v[114:115], v[94:95], s[10:11], v[104:105]
	v_fma_f64 v[104:105], v[94:95], s[10:11], -v[104:105]
	;; [unrolled: 2-line block ×3, first 2 shown]
	v_add_f64 v[100:101], v[120:121], v[100:101]
	v_add_f64 v[183:184], v[122:123], v[183:184]
	;; [unrolled: 1-line block ×11, first 2 shown]
	v_fma_f64 v[116:117], v[94:95], s[18:19], v[106:107]
	v_fma_f64 v[106:107], v[94:95], s[18:19], -v[106:107]
	v_fma_f64 v[118:119], v[94:95], s[30:31], v[108:109]
	v_fma_f64 v[108:109], v[94:95], s[30:31], -v[108:109]
	v_mul_f64 v[94:95], v[96:97], s[36:37]
	v_mul_f64 v[96:97], v[96:97], s[42:43]
	v_add_f64 v[193:194], v[120:121], v[102:103]
	v_add_f64 v[207:208], v[120:121], v[92:93]
	v_mul_f64 v[102:103], v[134:135], s[2:3]
	v_add_f64 v[195:196], v[120:121], v[104:105]
	v_add_f64 v[112:113], v[120:121], v[112:113]
	;; [unrolled: 1-line block ×8, first 2 shown]
	v_fma_f64 v[181:182], v[98:99], s[40:41], v[94:95]
	v_fma_f64 v[191:192], v[98:99], s[44:45], v[96:97]
	;; [unrolled: 1-line block ×4, first 2 shown]
	v_add_f64 v[98:99], v[120:121], v[110:111]
	v_fma_f64 v[104:105], v[161:162], s[10:11], v[102:103]
	v_add_f64 v[110:111], v[122:123], v[181:182]
	v_add_f64 v[191:192], v[122:123], v[191:192]
	;; [unrolled: 1-line block ×3, first 2 shown]
	v_mul_f64 v[96:97], v[177:178], s[16:17]
	v_add_f64 v[181:182], v[122:123], v[94:95]
	v_fma_f64 v[92:93], v[171:172], s[24:25], v[96:97]
	v_fma_f64 v[96:97], v[171:172], s[24:25], -v[96:97]
	v_add_f64 v[92:93], v[92:93], v[98:99]
	v_mul_f64 v[98:99], v[173:174], s[24:25]
	v_add_f64 v[96:97], v[96:97], v[100:101]
	v_fma_f64 v[100:101], v[161:162], s[10:11], -v[102:103]
	v_add_f64 v[92:93], v[104:105], v[92:93]
	v_fma_f64 v[94:95], v[175:176], s[34:35], v[98:99]
	v_mul_f64 v[104:105], v[163:164], s[10:11]
	v_fma_f64 v[98:99], v[175:176], s[16:17], v[98:99]
	v_add_f64 v[96:97], v[100:101], v[96:97]
	v_add_f64 v[94:95], v[94:95], v[110:111]
	v_fma_f64 v[106:107], v[132:133], s[20:21], v[104:105]
	v_add_f64 v[98:99], v[98:99], v[181:182]
	v_fma_f64 v[100:101], v[132:133], s[2:3], v[104:105]
	v_mul_f64 v[104:105], v[177:178], s[8:9]
	v_add_f64 v[94:95], v[106:107], v[94:95]
	v_mul_f64 v[106:107], v[138:139], s[8:9]
	v_add_f64 v[98:99], v[100:101], v[98:99]
	v_fma_f64 v[108:109], v[157:158], s[18:19], v[106:107]
	v_fma_f64 v[100:101], v[157:158], s[18:19], -v[106:107]
	v_mul_f64 v[106:107], v[173:174], s[18:19]
	v_add_f64 v[92:93], v[108:109], v[92:93]
	v_mul_f64 v[108:109], v[159:160], s[18:19]
	v_add_f64 v[96:97], v[100:101], v[96:97]
	v_fma_f64 v[110:111], v[136:137], s[28:29], v[108:109]
	v_fma_f64 v[100:101], v[136:137], s[8:9], v[108:109]
	v_mul_f64 v[108:109], v[134:135], s[46:47]
	v_add_f64 v[94:95], v[110:111], v[94:95]
	v_mul_f64 v[110:111], v[155:156], s[22:23]
	v_add_f64 v[98:99], v[100:101], v[98:99]
	v_fma_f64 v[116:117], v[142:143], s[30:31], v[110:111]
	v_fma_f64 v[100:101], v[142:143], s[30:31], -v[110:111]
	v_fma_f64 v[110:111], v[161:162], s[42:43], v[108:109]
	v_fma_f64 v[108:109], v[161:162], s[42:43], -v[108:109]
	v_add_f64 v[92:93], v[116:117], v[92:93]
	v_mul_f64 v[116:117], v[153:154], s[30:31]
	v_add_f64 v[96:97], v[100:101], v[96:97]
	v_fma_f64 v[118:119], v[140:141], s[38:39], v[116:117]
	v_fma_f64 v[100:101], v[140:141], s[22:23], v[116:117]
	v_add_f64 v[94:95], v[118:119], v[94:95]
	v_mul_f64 v[118:119], v[151:152], s[46:47]
	v_add_f64 v[98:99], v[100:101], v[98:99]
	v_fma_f64 v[120:121], v[146:147], s[42:43], v[118:119]
	v_fma_f64 v[100:101], v[146:147], s[42:43], -v[118:119]
	v_add_f64 v[92:93], v[120:121], v[92:93]
	v_mul_f64 v[120:121], v[149:150], s[42:43]
	v_add_f64 v[100:101], v[100:101], v[96:97]
	v_fma_f64 v[96:97], v[171:172], s[18:19], v[104:105]
	v_fma_f64 v[104:105], v[171:172], s[18:19], -v[104:105]
	v_fma_f64 v[102:103], v[144:145], s[46:47], v[120:121]
	v_fma_f64 v[122:123], v[144:145], s[44:45], v[120:121]
	v_add_f64 v[96:97], v[96:97], v[112:113]
	v_add_f64 v[104:105], v[104:105], v[193:194]
	;; [unrolled: 1-line block ×3, first 2 shown]
	v_fma_f64 v[98:99], v[175:176], s[28:29], v[106:107]
	v_add_f64 v[96:97], v[110:111], v[96:97]
	v_mul_f64 v[110:111], v[163:164], s[42:43]
	v_fma_f64 v[106:107], v[175:176], s[8:9], v[106:107]
	v_add_f64 v[104:105], v[108:109], v[104:105]
	v_add_f64 v[94:95], v[122:123], v[94:95]
	;; [unrolled: 1-line block ×3, first 2 shown]
	v_fma_f64 v[112:113], v[132:133], s[44:45], v[110:111]
	v_add_f64 v[106:107], v[106:107], v[126:127]
	v_fma_f64 v[108:109], v[132:133], s[46:47], v[110:111]
	v_add_f64 v[98:99], v[112:113], v[98:99]
	v_mul_f64 v[112:113], v[138:139], s[38:39]
	v_add_f64 v[106:107], v[108:109], v[106:107]
	v_fma_f64 v[116:117], v[157:158], s[30:31], v[112:113]
	v_fma_f64 v[108:109], v[157:158], s[30:31], -v[112:113]
	v_mul_f64 v[112:113], v[177:178], s[46:47]
	v_add_f64 v[96:97], v[116:117], v[96:97]
	v_mul_f64 v[116:117], v[159:160], s[30:31]
	v_add_f64 v[104:105], v[108:109], v[104:105]
	v_fma_f64 v[118:119], v[136:137], s[22:23], v[116:117]
	v_fma_f64 v[108:109], v[136:137], s[38:39], v[116:117]
	v_mul_f64 v[116:117], v[134:135], s[28:29]
	v_add_f64 v[98:99], v[118:119], v[98:99]
	v_mul_f64 v[118:119], v[155:156], s[20:21]
	v_add_f64 v[106:107], v[108:109], v[106:107]
	v_fma_f64 v[120:121], v[142:143], s[10:11], v[118:119]
	v_fma_f64 v[108:109], v[142:143], s[10:11], -v[118:119]
	v_fma_f64 v[118:119], v[161:162], s[18:19], v[116:117]
	v_fma_f64 v[116:117], v[161:162], s[18:19], -v[116:117]
	v_add_f64 v[96:97], v[120:121], v[96:97]
	v_mul_f64 v[120:121], v[153:154], s[10:11]
	v_add_f64 v[104:105], v[108:109], v[104:105]
	v_fma_f64 v[122:123], v[140:141], s[2:3], v[120:121]
	v_fma_f64 v[108:109], v[140:141], s[20:21], v[120:121]
	v_add_f64 v[98:99], v[122:123], v[98:99]
	v_mul_f64 v[122:123], v[151:152], s[40:41]
	v_add_f64 v[106:107], v[108:109], v[106:107]
	v_fma_f64 v[124:125], v[146:147], s[36:37], v[122:123]
	v_fma_f64 v[108:109], v[146:147], s[36:37], -v[122:123]
	v_add_f64 v[96:97], v[124:125], v[96:97]
	v_mul_f64 v[124:125], v[149:150], s[36:37]
	v_add_f64 v[108:109], v[108:109], v[104:105]
	v_fma_f64 v[104:105], v[171:172], s[42:43], v[112:113]
	v_fma_f64 v[112:113], v[171:172], s[42:43], -v[112:113]
	v_fma_f64 v[110:111], v[144:145], s[40:41], v[124:125]
	v_fma_f64 v[181:182], v[144:145], s[26:27], v[124:125]
	v_add_f64 v[104:105], v[104:105], v[114:115]
	v_mul_f64 v[114:115], v[173:174], s[42:43]
	v_add_f64 v[112:113], v[112:113], v[195:196]
	v_add_f64 v[110:111], v[110:111], v[106:107]
	;; [unrolled: 1-line block ×4, first 2 shown]
	v_fma_f64 v[106:107], v[175:176], s[44:45], v[114:115]
	v_mul_f64 v[118:119], v[163:164], s[18:19]
	v_fma_f64 v[114:115], v[175:176], s[46:47], v[114:115]
	v_add_f64 v[112:113], v[116:117], v[112:113]
	v_add_f64 v[106:107], v[106:107], v[185:186]
	v_fma_f64 v[120:121], v[132:133], s[8:9], v[118:119]
	v_add_f64 v[114:115], v[114:115], v[128:129]
	v_fma_f64 v[116:117], v[132:133], s[28:29], v[118:119]
	v_add_f64 v[106:107], v[120:121], v[106:107]
	v_mul_f64 v[120:121], v[138:139], s[40:41]
	v_add_f64 v[114:115], v[116:117], v[114:115]
	v_fma_f64 v[122:123], v[157:158], s[36:37], v[120:121]
	v_fma_f64 v[116:117], v[157:158], s[36:37], -v[120:121]
	v_mul_f64 v[120:121], v[177:178], s[38:39]
	v_add_f64 v[104:105], v[122:123], v[104:105]
	v_mul_f64 v[122:123], v[159:160], s[36:37]
	v_add_f64 v[112:113], v[116:117], v[112:113]
	v_fma_f64 v[124:125], v[136:137], s[26:27], v[122:123]
	v_fma_f64 v[116:117], v[136:137], s[40:41], v[122:123]
	v_mul_f64 v[122:123], v[173:174], s[30:31]
	v_add_f64 v[106:107], v[124:125], v[106:107]
	v_mul_f64 v[124:125], v[155:156], s[16:17]
	v_add_f64 v[114:115], v[116:117], v[114:115]
	v_fma_f64 v[126:127], v[142:143], s[24:25], v[124:125]
	v_fma_f64 v[116:117], v[142:143], s[24:25], -v[124:125]
	v_mul_f64 v[124:125], v[134:135], s[40:41]
	v_add_f64 v[104:105], v[126:127], v[104:105]
	v_mul_f64 v[126:127], v[153:154], s[24:25]
	v_add_f64 v[112:113], v[116:117], v[112:113]
	v_fma_f64 v[181:182], v[140:141], s[34:35], v[126:127]
	v_fma_f64 v[116:117], v[140:141], s[16:17], v[126:127]
	;; [unrolled: 1-line block ×3, first 2 shown]
	v_fma_f64 v[124:125], v[161:162], s[36:37], -v[124:125]
	v_add_f64 v[106:107], v[181:182], v[106:107]
	v_mul_f64 v[181:182], v[151:152], s[22:23]
	v_add_f64 v[114:115], v[116:117], v[114:115]
	v_fma_f64 v[183:184], v[146:147], s[30:31], v[181:182]
	v_fma_f64 v[116:117], v[146:147], s[30:31], -v[181:182]
	v_add_f64 v[104:105], v[183:184], v[104:105]
	v_mul_f64 v[183:184], v[149:150], s[30:31]
	v_add_f64 v[116:117], v[116:117], v[112:113]
	v_fma_f64 v[112:113], v[171:172], s[30:31], v[120:121]
	v_fma_f64 v[120:121], v[171:172], s[30:31], -v[120:121]
	v_fma_f64 v[118:119], v[144:145], s[22:23], v[183:184]
	v_fma_f64 v[185:186], v[144:145], s[38:39], v[183:184]
	v_add_f64 v[112:113], v[112:113], v[197:198]
	v_add_f64 v[120:121], v[120:121], v[199:200]
	;; [unrolled: 1-line block ×3, first 2 shown]
	v_fma_f64 v[114:115], v[175:176], s[22:23], v[122:123]
	v_add_f64 v[112:113], v[126:127], v[112:113]
	v_mul_f64 v[126:127], v[163:164], s[36:37]
	v_fma_f64 v[122:123], v[175:176], s[38:39], v[122:123]
	v_add_f64 v[120:121], v[124:125], v[120:121]
	v_add_f64 v[106:107], v[185:186], v[106:107]
	v_add_f64 v[114:115], v[114:115], v[187:188]
	v_fma_f64 v[128:129], v[132:133], s[26:27], v[126:127]
	v_add_f64 v[122:123], v[122:123], v[130:131]
	v_fma_f64 v[124:125], v[132:133], s[40:41], v[126:127]
	v_mul_f64 v[130:131], v[173:174], s[10:11]
	v_mul_f64 v[173:174], v[173:174], s[36:37]
	v_add_f64 v[114:115], v[128:129], v[114:115]
	v_mul_f64 v[128:129], v[138:139], s[2:3]
	v_add_f64 v[122:123], v[124:125], v[122:123]
	v_fma_f64 v[181:182], v[157:158], s[10:11], v[128:129]
	v_fma_f64 v[124:125], v[157:158], s[10:11], -v[128:129]
	v_mul_f64 v[128:129], v[177:178], s[20:21]
	v_mul_f64 v[177:178], v[177:178], s[40:41]
	v_add_f64 v[112:113], v[181:182], v[112:113]
	v_mul_f64 v[181:182], v[159:160], s[10:11]
	v_add_f64 v[120:121], v[124:125], v[120:121]
	v_fma_f64 v[183:184], v[136:137], s[20:21], v[181:182]
	v_fma_f64 v[124:125], v[136:137], s[2:3], v[181:182]
	v_mul_f64 v[181:182], v[134:135], s[16:17]
	v_mul_f64 v[134:135], v[134:135], s[22:23]
	v_add_f64 v[114:115], v[183:184], v[114:115]
	v_mul_f64 v[183:184], v[155:156], s[44:45]
	v_add_f64 v[122:123], v[124:125], v[122:123]
	v_fma_f64 v[185:186], v[142:143], s[42:43], v[183:184]
	v_fma_f64 v[124:125], v[142:143], s[42:43], -v[183:184]
	v_fma_f64 v[183:184], v[161:162], s[24:25], v[181:182]
	v_add_f64 v[112:113], v[185:186], v[112:113]
	v_mul_f64 v[185:186], v[153:154], s[42:43]
	v_add_f64 v[120:121], v[124:125], v[120:121]
	v_fma_f64 v[187:188], v[140:141], s[46:47], v[185:186]
	v_fma_f64 v[124:125], v[140:141], s[44:45], v[185:186]
	v_add_f64 v[114:115], v[187:188], v[114:115]
	v_mul_f64 v[187:188], v[151:152], s[34:35]
	v_add_f64 v[122:123], v[124:125], v[122:123]
	v_fma_f64 v[193:194], v[146:147], s[24:25], v[187:188]
	v_fma_f64 v[124:125], v[146:147], s[24:25], -v[187:188]
	v_add_f64 v[112:113], v[193:194], v[112:113]
	v_mul_f64 v[193:194], v[149:150], s[24:25]
	v_add_f64 v[124:125], v[124:125], v[120:121]
	v_fma_f64 v[120:121], v[171:172], s[10:11], v[128:129]
	v_fma_f64 v[128:129], v[171:172], s[10:11], -v[128:129]
	v_fma_f64 v[126:127], v[144:145], s[34:35], v[193:194]
	v_fma_f64 v[195:196], v[144:145], s[16:17], v[193:194]
	v_add_f64 v[120:121], v[120:121], v[201:202]
	v_add_f64 v[128:129], v[128:129], v[203:204]
	v_add_f64 v[126:127], v[126:127], v[122:123]
	v_fma_f64 v[122:123], v[175:176], s[2:3], v[130:131]
	v_add_f64 v[120:121], v[183:184], v[120:121]
	v_mul_f64 v[183:184], v[163:164], s[24:25]
	v_fma_f64 v[130:131], v[175:176], s[20:21], v[130:131]
	v_add_f64 v[114:115], v[195:196], v[114:115]
	v_add_f64 v[122:123], v[122:123], v[189:190]
	v_fma_f64 v[185:186], v[132:133], s[34:35], v[183:184]
	v_add_f64 v[130:131], v[130:131], v[179:180]
	v_fma_f64 v[179:180], v[161:162], s[24:25], -v[181:182]
	v_add_f64 v[122:123], v[185:186], v[122:123]
	v_mul_f64 v[185:186], v[138:139], s[44:45]
	v_add_f64 v[128:129], v[179:180], v[128:129]
	v_fma_f64 v[179:180], v[132:133], s[16:17], v[183:184]
	v_mul_f64 v[138:139], v[138:139], s[34:35]
	v_fma_f64 v[187:188], v[157:158], s[42:43], v[185:186]
	v_add_f64 v[130:131], v[179:180], v[130:131]
	v_fma_f64 v[179:180], v[157:158], s[42:43], -v[185:186]
	v_add_f64 v[120:121], v[187:188], v[120:121]
	v_mul_f64 v[187:188], v[159:160], s[42:43]
	v_add_f64 v[128:129], v[179:180], v[128:129]
	v_fma_f64 v[189:190], v[136:137], s[46:47], v[187:188]
	v_fma_f64 v[179:180], v[136:137], s[44:45], v[187:188]
	v_add_f64 v[122:123], v[189:190], v[122:123]
	v_mul_f64 v[189:190], v[155:156], s[40:41]
	v_add_f64 v[130:131], v[179:180], v[130:131]
	v_fma_f64 v[193:194], v[142:143], s[36:37], v[189:190]
	v_fma_f64 v[179:180], v[142:143], s[36:37], -v[189:190]
	v_add_f64 v[120:121], v[193:194], v[120:121]
	v_mul_f64 v[193:194], v[153:154], s[36:37]
	v_add_f64 v[128:129], v[179:180], v[128:129]
	v_fma_f64 v[195:196], v[140:141], s[26:27], v[193:194]
	v_fma_f64 v[179:180], v[140:141], s[40:41], v[193:194]
	v_add_f64 v[122:123], v[195:196], v[122:123]
	v_mul_f64 v[195:196], v[151:152], s[8:9]
	v_add_f64 v[130:131], v[179:180], v[130:131]
	v_fma_f64 v[179:180], v[146:147], s[18:19], -v[195:196]
	v_fma_f64 v[197:198], v[146:147], s[18:19], v[195:196]
	v_add_f64 v[128:129], v[179:180], v[128:129]
	v_fma_f64 v[179:180], v[171:172], s[36:37], v[177:178]
	v_fma_f64 v[171:172], v[171:172], s[36:37], -v[177:178]
	v_fma_f64 v[177:178], v[175:176], s[26:27], v[173:174]
	v_fma_f64 v[173:174], v[175:176], s[40:41], v[173:174]
	v_add_f64 v[120:121], v[197:198], v[120:121]
	v_mul_f64 v[197:198], v[149:150], s[18:19]
	v_add_f64 v[175:176], v[179:180], v[205:206]
	v_add_f64 v[171:172], v[171:172], v[207:208]
	v_fma_f64 v[179:180], v[161:162], s[30:31], v[134:135]
	v_fma_f64 v[134:135], v[161:162], s[30:31], -v[134:135]
	v_mul_f64 v[161:162], v[163:164], s[30:31]
	v_add_f64 v[173:174], v[173:174], v[209:210]
	v_add_f64 v[177:178], v[177:178], v[191:192]
	v_fma_f64 v[199:200], v[144:145], s[28:29], v[197:198]
	v_fma_f64 v[181:182], v[144:145], s[8:9], v[197:198]
	v_add_f64 v[134:135], v[134:135], v[171:172]
	v_fma_f64 v[163:164], v[132:133], s[38:39], v[161:162]
	v_fma_f64 v[132:133], v[132:133], s[22:23], v[161:162]
	;; [unrolled: 1-line block ×3, first 2 shown]
	v_fma_f64 v[138:139], v[157:158], s[24:25], -v[138:139]
	v_mul_f64 v[157:158], v[159:160], s[24:25]
	v_add_f64 v[161:162], v[179:180], v[175:176]
	v_add_f64 v[122:123], v[199:200], v[122:123]
	;; [unrolled: 1-line block ×6, first 2 shown]
	v_fma_f64 v[159:160], v[136:137], s[16:17], v[157:158]
	v_fma_f64 v[136:137], v[136:137], s[34:35], v[157:158]
	v_add_f64 v[157:158], v[171:172], v[161:162]
	v_add_f64 v[159:160], v[159:160], v[163:164]
	;; [unrolled: 1-line block ×3, first 2 shown]
	v_mul_f64 v[136:137], v[155:156], s[8:9]
	v_fma_f64 v[138:139], v[142:143], s[18:19], v[136:137]
	v_fma_f64 v[136:137], v[142:143], s[18:19], -v[136:137]
	v_mul_f64 v[142:143], v[153:154], s[18:19]
	v_add_f64 v[138:139], v[138:139], v[157:158]
	v_add_f64 v[134:135], v[136:137], v[134:135]
	v_fma_f64 v[153:154], v[140:141], s[28:29], v[142:143]
	v_fma_f64 v[140:141], v[140:141], s[8:9], v[142:143]
	v_add_f64 v[142:143], v[153:154], v[159:160]
	v_add_f64 v[140:141], v[140:141], v[132:133]
	v_mul_f64 v[132:133], v[151:152], s[20:21]
	v_fma_f64 v[136:137], v[146:147], s[10:11], v[132:133]
	v_fma_f64 v[132:133], v[146:147], s[10:11], -v[132:133]
	v_mul_f64 v[146:147], v[149:150], s[10:11]
	v_add_f64 v[136:137], v[136:137], v[138:139]
	v_add_f64 v[132:133], v[132:133], v[134:135]
	v_fma_f64 v[149:150], v[144:145], s[2:3], v[146:147]
	v_fma_f64 v[144:145], v[144:145], s[20:21], v[146:147]
	v_add_f64 v[138:139], v[149:150], v[142:143]
	v_add_f64 v[134:135], v[144:145], v[140:141]
	s_and_saveexec_b32 s1, vcc_lo
	s_cbranch_execz .LBB0_17
; %bb.16:
	v_mov_b32_e32 v140, 4
	v_lshlrev_b32_sdwa v140, v140, v170 dst_sel:DWORD dst_unused:UNUSED_PAD src0_sel:DWORD src1_sel:WORD_0
	ds_write_b128 v140, v[88:91]
	ds_write_b128 v140, v[92:95] offset:16
	ds_write_b128 v140, v[96:99] offset:32
	;; [unrolled: 1-line block ×12, first 2 shown]
.LBB0_17:
	s_or_b32 exec_lo, exec_lo, s1
	s_waitcnt lgkmcnt(0)
	s_barrier
	buffer_gl0_inv
	s_and_saveexec_b32 s1, s0
	s_cbranch_execz .LBB0_19
; %bb.18:
	ds_read_b128 v[88:91], v165
	ds_read_b128 v[92:95], v165 offset:1040
	ds_read_b128 v[96:99], v165 offset:2080
	ds_read_b128 v[104:107], v165 offset:3120
	ds_read_b128 v[112:115], v165 offset:4160
	ds_read_b128 v[120:123], v165 offset:5200
	ds_read_b128 v[136:139], v165 offset:6240
	ds_read_b128 v[132:135], v165 offset:7280
	ds_read_b128 v[128:131], v165 offset:8320
	ds_read_b128 v[124:127], v165 offset:9360
	ds_read_b128 v[116:119], v165 offset:10400
	ds_read_b128 v[108:111], v165 offset:11440
	ds_read_b128 v[100:103], v165 offset:12480
	ds_read_b128 v[76:79], v165 offset:13520
	ds_read_b128 v[80:83], v165 offset:14560
	ds_read_b128 v[84:87], v165 offset:15600
.LBB0_19:
	s_or_b32 exec_lo, exec_lo, s1
	s_waitcnt lgkmcnt(0)
	s_barrier
	buffer_gl0_inv
	s_and_saveexec_b32 s10, s0
	s_cbranch_execz .LBB0_21
; %bb.20:
	v_mul_f64 v[140:141], v[14:15], v[96:97]
	v_mul_f64 v[144:145], v[46:47], v[138:139]
	v_mul_f64 v[146:147], v[58:59], v[82:83]
	v_mul_f64 v[149:150], v[18:19], v[128:129]
	v_mul_f64 v[46:47], v[46:47], v[136:137]
	v_mul_f64 v[142:143], v[42:43], v[116:117]
	v_mul_f64 v[151:152], v[6:7], v[114:115]
	v_mul_f64 v[153:154], v[34:35], v[102:103]
	v_mul_f64 v[58:59], v[58:59], v[80:81]
	v_mul_f64 v[14:15], v[14:15], v[98:99]
	v_mul_f64 v[42:43], v[42:43], v[118:119]
	v_mul_f64 v[155:156], v[10:11], v[104:105]
	v_mul_f64 v[157:158], v[38:39], v[108:109]
	v_mul_f64 v[159:160], v[26:27], v[134:135]
	v_mul_f64 v[161:162], v[54:55], v[86:87]
	v_mul_f64 v[26:27], v[26:27], v[132:133]
	v_mul_f64 v[54:55], v[54:55], v[84:85]
	v_mul_f64 v[10:11], v[10:11], v[106:107]
	v_mul_f64 v[38:39], v[38:39], v[110:111]
	v_mul_f64 v[6:7], v[6:7], v[112:113]
	v_mul_f64 v[34:35], v[34:35], v[100:101]
	v_mul_f64 v[18:19], v[18:19], v[130:131]
	v_fma_f64 v[98:99], v[12:13], v[98:99], -v[140:141]
	v_fma_f64 v[136:137], v[44:45], v[136:137], v[144:145]
	v_fma_f64 v[80:81], v[56:57], v[80:81], v[146:147]
	v_fma_f64 v[140:141], v[16:17], v[130:131], -v[149:150]
	v_fma_f64 v[44:45], v[44:45], v[138:139], -v[46:47]
	v_mul_f64 v[46:47], v[2:3], v[92:93]
	v_mul_f64 v[138:139], v[30:31], v[124:125]
	;; [unrolled: 1-line block ×8, first 2 shown]
	v_fma_f64 v[118:119], v[40:41], v[118:119], -v[142:143]
	v_fma_f64 v[142:143], v[4:5], v[112:113], v[151:152]
	v_fma_f64 v[144:145], v[32:33], v[100:101], v[153:154]
	v_fma_f64 v[56:57], v[56:57], v[82:83], -v[58:59]
	v_fma_f64 v[12:13], v[12:13], v[96:97], v[14:15]
	v_fma_f64 v[14:15], v[40:41], v[116:117], v[42:43]
	v_fma_f64 v[40:41], v[8:9], v[106:107], -v[155:156]
	v_fma_f64 v[42:43], v[36:37], v[110:111], -v[157:158]
	v_fma_f64 v[58:59], v[24:25], v[132:133], v[159:160]
	v_fma_f64 v[82:83], v[52:53], v[84:85], v[161:162]
	v_fma_f64 v[24:25], v[24:25], v[134:135], -v[26:27]
	;; [unrolled: 4-line block ×5, first 2 shown]
	v_fma_f64 v[6:7], v[32:33], v[102:103], -v[34:35]
	v_fma_f64 v[16:17], v[16:17], v[128:129], v[18:19]
	v_add_f64 v[18:19], v[98:99], -v[118:119]
	v_add_f64 v[28:29], v[136:137], -v[80:81]
	;; [unrolled: 1-line block ×9, first 2 shown]
	s_mov_b32 s0, 0x667f3bcd
	v_add_f64 v[10:11], v[8:9], -v[10:11]
	s_mov_b32 s1, 0x3fe6a09e
	v_add_f64 v[42:43], v[46:47], -v[84:85]
	;; [unrolled: 2-line block ×6, first 2 shown]
	v_add_f64 v[16:17], v[88:89], -v[16:17]
	s_mov_b32 s16, 0xa6aea964
	v_add_f64 v[50:51], v[18:19], -v[28:29]
	v_fma_f64 v[84:85], v[90:91], 2.0, -v[30:31]
	v_add_f64 v[52:53], v[30:31], -v[32:33]
	v_fma_f64 v[32:33], v[142:143], 2.0, -v[32:33]
	v_add_f64 v[54:55], v[34:35], v[14:15]
	v_fma_f64 v[34:35], v[44:45], 2.0, -v[34:35]
	v_add_f64 v[56:57], v[36:37], -v[38:39]
	v_fma_f64 v[24:25], v[24:25], 2.0, -v[26:27]
	s_mov_b32 s17, 0xbfd87de2
	v_add_f64 v[78:79], v[26:27], v[10:11]
	v_fma_f64 v[8:9], v[8:9], 2.0, -v[10:11]
	v_fma_f64 v[46:47], v[46:47], 2.0, -v[42:43]
	s_mov_b32 s19, 0x3fd87de2
	v_add_f64 v[76:77], v[42:43], -v[48:49]
	v_fma_f64 v[44:45], v[94:95], 2.0, -v[48:49]
	v_fma_f64 v[20:21], v[20:21], 2.0, -v[22:23]
	s_mov_b32 s18, s16
	v_add_f64 v[80:81], v[22:23], v[2:3]
	v_fma_f64 v[0:1], v[0:1], 2.0, -v[2:3]
	v_fma_f64 v[4:5], v[4:5], 2.0, -v[6:7]
	v_add_f64 v[82:83], v[16:17], v[6:7]
	v_fma_f64 v[6:7], v[12:13], 2.0, -v[14:15]
	v_fma_f64 v[12:13], v[136:137], 2.0, -v[28:29]
	;; [unrolled: 1-line block ×11, first 2 shown]
	v_fma_f64 v[40:41], v[50:51], s[0:1], v[52:53]
	s_mov_b32 s21, 0xbfed906b
	s_mov_b32 s20, s8
	v_fma_f64 v[30:31], v[42:43], 2.0, -v[76:77]
	v_fma_f64 v[42:43], v[56:57], s[0:1], v[76:77]
	v_add_f64 v[20:21], v[46:47], -v[20:21]
	v_fma_f64 v[2:3], v[2:3], 2.0, -v[80:81]
	v_add_f64 v[44:45], v[0:1], -v[44:45]
	v_add_f64 v[4:5], v[84:85], -v[4:5]
	v_fma_f64 v[16:17], v[16:17], 2.0, -v[82:83]
	v_fma_f64 v[58:59], v[78:79], s[0:1], v[80:81]
	v_add_f64 v[12:13], v[6:7], -v[12:13]
	v_add_f64 v[28:29], v[8:9], -v[28:29]
	;; [unrolled: 1-line block ×5, first 2 shown]
	v_fma_f64 v[86:87], v[54:55], s[0:1], v[82:83]
	v_fma_f64 v[88:89], v[18:19], s[2:3], v[26:27]
	;; [unrolled: 1-line block ×6, first 2 shown]
	v_fma_f64 v[0:1], v[0:1], 2.0, -v[44:45]
	v_fma_f64 v[54:55], v[84:85], 2.0, -v[4:5]
	v_fma_f64 v[94:95], v[14:15], s[2:3], v[16:17]
	v_fma_f64 v[6:7], v[6:7], 2.0, -v[12:13]
	v_add_f64 v[78:79], v[4:5], -v[12:13]
	v_add_f64 v[12:13], v[20:21], -v[28:29]
	v_fma_f64 v[38:39], v[38:39], 2.0, -v[34:35]
	v_fma_f64 v[8:9], v[8:9], 2.0, -v[28:29]
	;; [unrolled: 1-line block ×5, first 2 shown]
	v_fma_f64 v[46:47], v[56:57], s[0:1], v[58:59]
	v_fma_f64 v[50:51], v[50:51], s[0:1], v[86:87]
	v_add_f64 v[24:25], v[24:25], v[44:45]
	v_add_f64 v[56:57], v[32:33], v[34:35]
	v_fma_f64 v[58:59], v[14:15], s[2:3], v[88:89]
	v_fma_f64 v[34:35], v[10:11], s[2:3], v[90:91]
	v_fma_f64 v[52:53], v[52:53], 2.0, -v[40:41]
	v_fma_f64 v[10:11], v[42:43], s[8:9], v[40:41]
	v_fma_f64 v[14:15], v[36:37], s[0:1], v[92:93]
	v_fma_f64 v[36:37], v[76:77], 2.0, -v[42:43]
	v_fma_f64 v[84:85], v[18:19], s[0:1], v[94:95]
	v_fma_f64 v[76:77], v[4:5], 2.0, -v[78:79]
	v_fma_f64 v[20:21], v[20:21], 2.0, -v[12:13]
	v_add_f64 v[86:87], v[54:55], -v[38:39]
	v_add_f64 v[8:9], v[0:1], -v[8:9]
	;; [unrolled: 1-line block ×3, first 2 shown]
	v_fma_f64 v[6:7], v[12:13], s[0:1], v[78:79]
	v_add_f64 v[18:19], v[28:29], -v[22:23]
	v_fma_f64 v[22:23], v[80:81], 2.0, -v[46:47]
	v_fma_f64 v[80:81], v[82:83], 2.0, -v[50:51]
	;; [unrolled: 1-line block ×6, first 2 shown]
	v_fma_f64 v[4:5], v[46:47], s[8:9], v[50:51]
	v_fma_f64 v[26:27], v[34:35], s[18:19], v[58:59]
	v_fma_f64 v[30:31], v[2:3], 2.0, -v[14:15]
	v_fma_f64 v[94:95], v[36:37], s[16:17], v[52:53]
	v_fma_f64 v[2:3], v[46:47], s[16:17], v[10:11]
	v_fma_f64 v[92:93], v[16:17], 2.0, -v[84:85]
	v_fma_f64 v[16:17], v[24:25], s[0:1], v[56:57]
	v_fma_f64 v[44:45], v[14:15], s[18:19], v[84:85]
	;; [unrolled: 1-line block ×3, first 2 shown]
	v_fma_f64 v[98:99], v[54:55], 2.0, -v[86:87]
	v_fma_f64 v[54:55], v[0:1], 2.0, -v[8:9]
	v_fma_f64 v[48:49], v[48:49], 2.0, -v[88:89]
	v_add_f64 v[10:11], v[86:87], -v[8:9]
	v_fma_f64 v[28:29], v[28:29], 2.0, -v[18:19]
	v_add_f64 v[8:9], v[88:89], v[18:19]
	v_fma_f64 v[102:103], v[22:23], s[16:17], v[80:81]
	v_fma_f64 v[6:7], v[24:25], s[2:3], v[6:7]
	;; [unrolled: 1-line block ×10, first 2 shown]
	v_fma_f64 v[34:35], v[40:41], 2.0, -v[2:3]
	v_fma_f64 v[22:23], v[38:39], s[2:3], v[96:97]
	v_add_f64 v[24:25], v[48:49], -v[54:55]
	v_fma_f64 v[42:43], v[86:87], 2.0, -v[10:11]
	v_add_f64 v[26:27], v[98:99], -v[28:29]
	v_fma_f64 v[40:41], v[88:89], 2.0, -v[8:9]
	v_fma_f64 v[16:17], v[36:37], s[8:9], v[102:103]
	v_fma_f64 v[38:39], v[78:79], 2.0, -v[6:7]
	v_fma_f64 v[20:21], v[20:21], s[0:1], v[100:101]
	v_fma_f64 v[30:31], v[30:31], s[16:17], v[104:105]
	v_fma_f64 v[46:47], v[58:59], 2.0, -v[14:15]
	v_fma_f64 v[28:29], v[32:33], s[18:19], v[106:107]
	v_fma_f64 v[36:37], v[56:57], 2.0, -v[4:5]
	v_mov_b32_e32 v56, 0xd0
	v_fma_f64 v[32:33], v[50:51], 2.0, -v[0:1]
	v_fma_f64 v[54:55], v[76:77], 2.0, -v[22:23]
	;; [unrolled: 1-line block ×4, first 2 shown]
	v_mul_u32_u24_sdwa v76, v169, v56 dst_sel:DWORD dst_unused:UNUSED_PAD src0_sel:WORD_0 src1_sel:DWORD
	v_fma_f64 v[56:57], v[48:49], 2.0, -v[24:25]
	v_fma_f64 v[58:59], v[98:99], 2.0, -v[26:27]
	;; [unrolled: 1-line block ×3, first 2 shown]
	v_or_b32_e32 v80, v76, v168
	v_fma_f64 v[52:53], v[82:83], 2.0, -v[20:21]
	v_fma_f64 v[78:79], v[90:91], 2.0, -v[30:31]
	v_lshlrev_b32_e32 v80, 4, v80
	v_fma_f64 v[76:77], v[92:93], 2.0, -v[28:29]
	ds_write_b128 v80, v[8:11] offset:2496
	ds_write_b128 v80, v[4:7] offset:2912
	ds_write_b128 v80, v[40:43] offset:832
	ds_write_b128 v80, v[36:39] offset:1248
	ds_write_b128 v80, v[32:35] offset:1456
	ds_write_b128 v80, v[24:27] offset:1664
	ds_write_b128 v80, v[20:23] offset:2080
	ds_write_b128 v80, v[16:19] offset:2288
	ds_write_b128 v80, v[12:15] offset:2704
	ds_write_b128 v80, v[56:59]
	ds_write_b128 v80, v[52:55] offset:416
	ds_write_b128 v80, v[48:51] offset:624
	;; [unrolled: 1-line block ×6, first 2 shown]
.LBB0_21:
	s_or_b32 exec_lo, exec_lo, s10
	s_waitcnt lgkmcnt(0)
	s_barrier
	buffer_gl0_inv
	ds_read_b128 v[0:3], v165 offset:3328
	ds_read_b128 v[4:7], v165 offset:6656
	;; [unrolled: 1-line block ×4, first 2 shown]
	s_mov_b32 s0, 0x134454ff
	s_mov_b32 s1, 0xbfee6f0e
	;; [unrolled: 1-line block ×4, first 2 shown]
	s_waitcnt lgkmcnt(3)
	v_mul_f64 v[16:17], v[62:63], v[2:3]
	s_waitcnt lgkmcnt(2)
	v_mul_f64 v[18:19], v[74:75], v[6:7]
	;; [unrolled: 2-line block ×4, first 2 shown]
	v_mul_f64 v[26:27], v[74:75], v[4:5]
	v_mul_f64 v[28:29], v[70:71], v[8:9]
	;; [unrolled: 1-line block ×4, first 2 shown]
	v_fma_f64 v[16:17], v[60:61], v[0:1], v[16:17]
	v_fma_f64 v[4:5], v[72:73], v[4:5], v[18:19]
	;; [unrolled: 1-line block ×4, first 2 shown]
	v_fma_f64 v[6:7], v[72:73], v[6:7], -v[26:27]
	v_fma_f64 v[10:11], v[68:69], v[10:11], -v[28:29]
	;; [unrolled: 1-line block ×4, first 2 shown]
	ds_read_b128 v[0:3], v165
	v_add_f64 v[20:21], v[4:5], v[8:9]
	v_add_f64 v[22:23], v[16:17], v[12:13]
	v_add_f64 v[36:37], v[16:17], -v[12:13]
	v_add_f64 v[24:25], v[6:7], v[10:11]
	s_waitcnt lgkmcnt(0)
	v_add_f64 v[28:29], v[0:1], v[16:17]
	v_add_f64 v[26:27], v[18:19], v[14:15]
	;; [unrolled: 1-line block ×3, first 2 shown]
	v_add_f64 v[30:31], v[18:19], -v[14:15]
	v_add_f64 v[32:33], v[6:7], -v[10:11]
	;; [unrolled: 1-line block ×8, first 2 shown]
	v_fma_f64 v[20:21], v[20:21], -0.5, v[0:1]
	v_fma_f64 v[0:1], v[22:23], -0.5, v[0:1]
	v_add_f64 v[22:23], v[4:5], -v[8:9]
	v_fma_f64 v[24:25], v[24:25], -0.5, v[2:3]
	v_fma_f64 v[2:3], v[26:27], -0.5, v[2:3]
	v_add_f64 v[26:27], v[16:17], -v[4:5]
	v_add_f64 v[16:17], v[4:5], -v[16:17]
	v_add_f64 v[4:5], v[28:29], v[4:5]
	v_add_f64 v[6:7], v[34:35], v[6:7]
	;; [unrolled: 1-line block ×3, first 2 shown]
	v_fma_f64 v[28:29], v[30:31], s[0:1], v[20:21]
	v_fma_f64 v[20:21], v[30:31], s[2:3], v[20:21]
	;; [unrolled: 1-line block ×8, first 2 shown]
	s_mov_b32 s0, 0x4755a5e
	s_mov_b32 s1, 0xbfe2cf23
	;; [unrolled: 1-line block ×4, first 2 shown]
	v_add_f64 v[4:5], v[4:5], v[8:9]
	v_add_f64 v[6:7], v[6:7], v[10:11]
	;; [unrolled: 1-line block ×5, first 2 shown]
	v_fma_f64 v[8:9], v[32:33], s[0:1], v[28:29]
	v_fma_f64 v[10:11], v[32:33], s[2:3], v[20:21]
	;; [unrolled: 1-line block ×8, first 2 shown]
	s_mov_b32 s0, 0x372fe950
	s_mov_b32 s1, 0x3fd3c6ef
	v_add_f64 v[0:1], v[4:5], v[12:13]
	v_add_f64 v[2:3], v[6:7], v[14:15]
	v_fma_f64 v[4:5], v[26:27], s[0:1], v[8:9]
	v_fma_f64 v[8:9], v[26:27], s[0:1], v[10:11]
	;; [unrolled: 1-line block ×8, first 2 shown]
	ds_write_b128 v165, v[0:3]
	ds_write_b128 v165, v[4:7] offset:3328
	ds_write_b128 v165, v[12:15] offset:6656
	;; [unrolled: 1-line block ×4, first 2 shown]
	s_waitcnt lgkmcnt(0)
	s_barrier
	buffer_gl0_inv
	s_and_b32 exec_lo, exec_lo, vcc_lo
	s_cbranch_execz .LBB0_23
; %bb.22:
	v_add_co_u32 v40, s0, s14, v165
	v_add_co_ci_u32_e64 v41, null, s15, 0, s0
	v_lshlrev_b32_e32 v16, 4, v166
	v_add_co_u32 v12, vcc_lo, 0x800, v40
	v_add_co_ci_u32_e32 v13, vcc_lo, 0, v41, vcc_lo
	v_add_co_u32 v20, vcc_lo, 0x1000, v40
	v_add_co_ci_u32_e32 v21, vcc_lo, 0, v41, vcc_lo
	;; [unrolled: 2-line block ×4, first 2 shown]
	v_add_co_u32 v36, vcc_lo, 0x2800, v40
	s_clause 0x4
	global_load_dwordx4 v[0:3], v165, s[14:15]
	global_load_dwordx4 v[4:7], v165, s[14:15] offset:1280
	global_load_dwordx4 v[8:11], v[12:13], off offset:512
	global_load_dwordx4 v[12:15], v[12:13], off offset:1792
	global_load_dwordx4 v[16:19], v16, s[14:15]
	v_add_co_ci_u32_e32 v37, vcc_lo, 0, v41, vcc_lo
	v_add_co_u32 v44, vcc_lo, 0x3000, v40
	v_add_co_ci_u32_e32 v45, vcc_lo, 0, v41, vcc_lo
	v_add_co_u32 v48, vcc_lo, 0x3800, v40
	s_clause 0x4
	global_load_dwordx4 v[20:23], v[20:21], off offset:1024
	global_load_dwordx4 v[24:27], v[28:29], off offset:256
	;; [unrolled: 1-line block ×5, first 2 shown]
	v_add_co_ci_u32_e32 v49, vcc_lo, 0, v41, vcc_lo
	s_clause 0x2
	global_load_dwordx4 v[40:43], v[44:45], off offset:512
	global_load_dwordx4 v[44:47], v[44:45], off offset:1792
	;; [unrolled: 1-line block ×3, first 2 shown]
	v_mad_u64_u32 v[52:53], null, s6, v148, 0
	v_mad_u64_u32 v[54:55], null, s4, v167, 0
	s_mul_i32 s0, s5, 0x500
	s_mul_hi_u32 s1, s4, 0x500
	s_mul_i32 s2, s4, 0x500
	s_add_i32 s3, s1, s0
	v_mad_u64_u32 v[118:119], null, s4, v166, 0
	v_mad_u64_u32 v[56:57], null, s7, v148, v[53:54]
	s_mov_b32 s0, 0x1f81f820
	s_mov_b32 s1, 0x3f4f81f8
	v_mov_b32_e32 v68, v119
	v_mad_u64_u32 v[57:58], null, s5, v167, v[55:56]
	v_mov_b32_e32 v53, v56
	v_mad_u64_u32 v[92:93], null, s5, v166, v[68:69]
	v_lshlrev_b64 v[52:53], 4, v[52:53]
	v_mov_b32_e32 v55, v57
	v_mov_b32_e32 v119, v92
	v_lshlrev_b64 v[54:55], 4, v[54:55]
	v_add_co_u32 v152, vcc_lo, s12, v52
	v_add_co_ci_u32_e32 v153, vcc_lo, s13, v53, vcc_lo
	v_lshlrev_b64 v[118:119], 4, v[118:119]
	v_add_co_u32 v104, vcc_lo, v152, v54
	v_add_co_ci_u32_e32 v105, vcc_lo, v153, v55, vcc_lo
	ds_read_b128 v[52:55], v165
	ds_read_b128 v[56:59], v165 offset:1280
	ds_read_b128 v[60:63], v165 offset:2560
	;; [unrolled: 1-line block ×3, first 2 shown]
	v_add_co_u32 v106, vcc_lo, v104, s2
	v_add_co_ci_u32_e32 v107, vcc_lo, s3, v105, vcc_lo
	ds_read_b128 v[68:71], v165 offset:5120
	ds_read_b128 v[72:75], v165 offset:6400
	ds_read_b128 v[76:79], v165 offset:10240
	v_add_co_u32 v108, vcc_lo, v106, s2
	v_add_co_ci_u32_e32 v109, vcc_lo, s3, v107, vcc_lo
	v_add_co_u32 v110, vcc_lo, v108, s2
	v_add_co_ci_u32_e32 v111, vcc_lo, s3, v109, vcc_lo
	;; [unrolled: 2-line block ×6, first 2 shown]
	v_mad_u64_u32 v[122:123], null, 0xa00, s4, v[120:121]
	v_mov_b32_e32 v80, v123
	v_mad_u64_u32 v[123:124], null, 0xa00, s5, v[80:81]
	ds_read_b128 v[80:83], v165 offset:7680
	ds_read_b128 v[84:87], v165 offset:8960
	ds_read_b128 v[88:91], v165 offset:11520
	ds_read_b128 v[92:95], v165 offset:12800
	ds_read_b128 v[96:99], v165 offset:14080
	ds_read_b128 v[100:103], v165 offset:15360
	v_add_co_u32 v124, vcc_lo, v122, s2
	v_add_co_ci_u32_e32 v125, vcc_lo, s3, v123, vcc_lo
	s_waitcnt vmcnt(12) lgkmcnt(12)
	v_mul_f64 v[126:127], v[54:55], v[2:3]
	v_mul_f64 v[2:3], v[52:53], v[2:3]
	s_waitcnt vmcnt(11) lgkmcnt(11)
	v_mul_f64 v[128:129], v[58:59], v[6:7]
	v_mul_f64 v[6:7], v[56:57], v[6:7]
	;; [unrolled: 3-line block ×3, first 2 shown]
	v_mul_f64 v[132:133], v[62:63], v[10:11]
	v_mul_f64 v[10:11], v[60:61], v[10:11]
	v_mul_f64 v[134:135], v[66:67], v[14:15]
	v_mul_f64 v[14:15], v[64:65], v[14:15]
	s_waitcnt vmcnt(7)
	v_mul_f64 v[136:137], v[70:71], v[22:23]
	v_mul_f64 v[22:23], v[68:69], v[22:23]
	s_waitcnt vmcnt(6)
	v_mul_f64 v[138:139], v[74:75], v[26:27]
	v_mul_f64 v[26:27], v[72:73], v[26:27]
	s_waitcnt vmcnt(5) lgkmcnt(5)
	v_mul_f64 v[140:141], v[82:83], v[30:31]
	v_mul_f64 v[30:31], v[80:81], v[30:31]
	s_waitcnt vmcnt(4) lgkmcnt(4)
	;; [unrolled: 3-line block ×6, first 2 shown]
	v_mul_f64 v[150:151], v[102:103], v[50:51]
	v_mul_f64 v[50:51], v[100:101], v[50:51]
	v_fma_f64 v[52:53], v[52:53], v[0:1], v[126:127]
	v_fma_f64 v[2:3], v[0:1], v[54:55], -v[2:3]
	v_fma_f64 v[54:55], v[56:57], v[4:5], v[128:129]
	v_fma_f64 v[6:7], v[4:5], v[58:59], -v[6:7]
	;; [unrolled: 2-line block ×13, first 2 shown]
	v_mul_f64 v[0:1], v[52:53], s[0:1]
	v_mul_f64 v[2:3], v[2:3], s[0:1]
	;; [unrolled: 1-line block ×26, first 2 shown]
	v_add_co_u32 v52, vcc_lo, v124, s2
	v_add_co_ci_u32_e32 v53, vcc_lo, s3, v125, vcc_lo
	v_add_co_u32 v54, vcc_lo, v152, v118
	v_add_co_ci_u32_e32 v55, vcc_lo, v153, v119, vcc_lo
	;; [unrolled: 2-line block ×3, first 2 shown]
	global_store_dwordx4 v[104:105], v[0:3], off
	global_store_dwordx4 v[106:107], v[4:7], off
	;; [unrolled: 1-line block ×13, first 2 shown]
.LBB0_23:
	s_endpgm
	.section	.rodata,"a",@progbits
	.p2align	6, 0x0
	.amdhsa_kernel bluestein_single_fwd_len1040_dim1_dp_op_CI_CI
		.amdhsa_group_segment_fixed_size 16640
		.amdhsa_private_segment_fixed_size 0
		.amdhsa_kernarg_size 104
		.amdhsa_user_sgpr_count 6
		.amdhsa_user_sgpr_private_segment_buffer 1
		.amdhsa_user_sgpr_dispatch_ptr 0
		.amdhsa_user_sgpr_queue_ptr 0
		.amdhsa_user_sgpr_kernarg_segment_ptr 1
		.amdhsa_user_sgpr_dispatch_id 0
		.amdhsa_user_sgpr_flat_scratch_init 0
		.amdhsa_user_sgpr_private_segment_size 0
		.amdhsa_wavefront_size32 1
		.amdhsa_uses_dynamic_stack 0
		.amdhsa_system_sgpr_private_segment_wavefront_offset 0
		.amdhsa_system_sgpr_workgroup_id_x 1
		.amdhsa_system_sgpr_workgroup_id_y 0
		.amdhsa_system_sgpr_workgroup_id_z 0
		.amdhsa_system_sgpr_workgroup_info 0
		.amdhsa_system_vgpr_workitem_id 0
		.amdhsa_next_free_vgpr 211
		.amdhsa_next_free_sgpr 48
		.amdhsa_reserve_vcc 1
		.amdhsa_reserve_flat_scratch 0
		.amdhsa_float_round_mode_32 0
		.amdhsa_float_round_mode_16_64 0
		.amdhsa_float_denorm_mode_32 3
		.amdhsa_float_denorm_mode_16_64 3
		.amdhsa_dx10_clamp 1
		.amdhsa_ieee_mode 1
		.amdhsa_fp16_overflow 0
		.amdhsa_workgroup_processor_mode 1
		.amdhsa_memory_ordered 1
		.amdhsa_forward_progress 0
		.amdhsa_shared_vgpr_count 0
		.amdhsa_exception_fp_ieee_invalid_op 0
		.amdhsa_exception_fp_denorm_src 0
		.amdhsa_exception_fp_ieee_div_zero 0
		.amdhsa_exception_fp_ieee_overflow 0
		.amdhsa_exception_fp_ieee_underflow 0
		.amdhsa_exception_fp_ieee_inexact 0
		.amdhsa_exception_int_div_zero 0
	.end_amdhsa_kernel
	.text
.Lfunc_end0:
	.size	bluestein_single_fwd_len1040_dim1_dp_op_CI_CI, .Lfunc_end0-bluestein_single_fwd_len1040_dim1_dp_op_CI_CI
                                        ; -- End function
	.section	.AMDGPU.csdata,"",@progbits
; Kernel info:
; codeLenInByte = 17572
; NumSgprs: 50
; NumVgprs: 211
; ScratchSize: 0
; MemoryBound: 0
; FloatMode: 240
; IeeeMode: 1
; LDSByteSize: 16640 bytes/workgroup (compile time only)
; SGPRBlocks: 6
; VGPRBlocks: 26
; NumSGPRsForWavesPerEU: 50
; NumVGPRsForWavesPerEU: 211
; Occupancy: 4
; WaveLimiterHint : 1
; COMPUTE_PGM_RSRC2:SCRATCH_EN: 0
; COMPUTE_PGM_RSRC2:USER_SGPR: 6
; COMPUTE_PGM_RSRC2:TRAP_HANDLER: 0
; COMPUTE_PGM_RSRC2:TGID_X_EN: 1
; COMPUTE_PGM_RSRC2:TGID_Y_EN: 0
; COMPUTE_PGM_RSRC2:TGID_Z_EN: 0
; COMPUTE_PGM_RSRC2:TIDIG_COMP_CNT: 0
	.text
	.p2alignl 6, 3214868480
	.fill 48, 4, 3214868480
	.type	__hip_cuid_96ba6314fc54d868,@object ; @__hip_cuid_96ba6314fc54d868
	.section	.bss,"aw",@nobits
	.globl	__hip_cuid_96ba6314fc54d868
__hip_cuid_96ba6314fc54d868:
	.byte	0                               ; 0x0
	.size	__hip_cuid_96ba6314fc54d868, 1

	.ident	"AMD clang version 19.0.0git (https://github.com/RadeonOpenCompute/llvm-project roc-6.4.0 25133 c7fe45cf4b819c5991fe208aaa96edf142730f1d)"
	.section	".note.GNU-stack","",@progbits
	.addrsig
	.addrsig_sym __hip_cuid_96ba6314fc54d868
	.amdgpu_metadata
---
amdhsa.kernels:
  - .args:
      - .actual_access:  read_only
        .address_space:  global
        .offset:         0
        .size:           8
        .value_kind:     global_buffer
      - .actual_access:  read_only
        .address_space:  global
        .offset:         8
        .size:           8
        .value_kind:     global_buffer
      - .actual_access:  read_only
        .address_space:  global
        .offset:         16
        .size:           8
        .value_kind:     global_buffer
      - .actual_access:  read_only
        .address_space:  global
        .offset:         24
        .size:           8
        .value_kind:     global_buffer
      - .actual_access:  read_only
        .address_space:  global
        .offset:         32
        .size:           8
        .value_kind:     global_buffer
      - .offset:         40
        .size:           8
        .value_kind:     by_value
      - .address_space:  global
        .offset:         48
        .size:           8
        .value_kind:     global_buffer
      - .address_space:  global
        .offset:         56
        .size:           8
        .value_kind:     global_buffer
      - .address_space:  global
        .offset:         64
        .size:           8
        .value_kind:     global_buffer
      - .address_space:  global
        .offset:         72
        .size:           8
        .value_kind:     global_buffer
      - .offset:         80
        .size:           4
        .value_kind:     by_value
      - .address_space:  global
        .offset:         88
        .size:           8
        .value_kind:     global_buffer
      - .address_space:  global
        .offset:         96
        .size:           8
        .value_kind:     global_buffer
    .group_segment_fixed_size: 16640
    .kernarg_segment_align: 8
    .kernarg_segment_size: 104
    .language:       OpenCL C
    .language_version:
      - 2
      - 0
    .max_flat_workgroup_size: 208
    .name:           bluestein_single_fwd_len1040_dim1_dp_op_CI_CI
    .private_segment_fixed_size: 0
    .sgpr_count:     50
    .sgpr_spill_count: 0
    .symbol:         bluestein_single_fwd_len1040_dim1_dp_op_CI_CI.kd
    .uniform_work_group_size: 1
    .uses_dynamic_stack: false
    .vgpr_count:     211
    .vgpr_spill_count: 0
    .wavefront_size: 32
    .workgroup_processor_mode: 1
amdhsa.target:   amdgcn-amd-amdhsa--gfx1030
amdhsa.version:
  - 1
  - 2
...

	.end_amdgpu_metadata
